;; amdgpu-corpus repo=ROCm/rocFFT kind=compiled arch=gfx1030 opt=O3
	.text
	.amdgcn_target "amdgcn-amd-amdhsa--gfx1030"
	.amdhsa_code_object_version 6
	.protected	bluestein_single_fwd_len4096_dim1_half_op_CI_CI ; -- Begin function bluestein_single_fwd_len4096_dim1_half_op_CI_CI
	.globl	bluestein_single_fwd_len4096_dim1_half_op_CI_CI
	.p2align	8
	.type	bluestein_single_fwd_len4096_dim1_half_op_CI_CI,@function
bluestein_single_fwd_len4096_dim1_half_op_CI_CI: ; @bluestein_single_fwd_len4096_dim1_half_op_CI_CI
; %bb.0:
	s_load_dwordx4 s[12:15], s[4:5], 0x28
	s_mov_b32 s7, 0
	s_mov_b32 s1, exec_lo
	s_waitcnt lgkmcnt(0)
	v_cmpx_lt_u64_e64 s[6:7], s[12:13]
	s_cbranch_execz .LBB0_2
; %bb.1:
	s_clause 0x1
	s_load_dwordx4 s[0:3], s[4:5], 0x18
	s_load_dwordx4 s[8:11], s[4:5], 0x0
	v_mov_b32_e32 v32, s7
	v_mov_b32_e32 v31, s6
	v_lshlrev_b32_e32 v45, 2, v0
	v_lshlrev_b32_e32 v41, 6, v0
	s_load_dwordx2 s[4:5], s[4:5], 0x38
	v_or_b32_e32 v34, 0x800, v45
	v_or_b32_e32 v35, 0xc00, v45
	;; [unrolled: 1-line block ×11, first 2 shown]
	s_waitcnt lgkmcnt(0)
	s_load_dwordx4 s[16:19], s[0:1], 0x0
	s_add_u32 s6, s8, 0x4000
	s_addc_u32 s7, s9, 0
	v_or_b32_e32 v64, 0x3400, v45
	v_or_b32_e32 v33, 0x3800, v45
	;; [unrolled: 1-line block ×3, first 2 shown]
	s_waitcnt lgkmcnt(0)
	v_mad_u64_u32 v[1:2], null, s18, v31, 0
	v_mad_u64_u32 v[3:4], null, s16, v0, 0
	s_lshl_b64 s[0:1], s[16:17], 10
	v_mad_u64_u32 v[5:6], null, s19, v31, v[2:3]
	v_mad_u64_u32 v[6:7], null, s17, v0, v[4:5]
	v_mov_b32_e32 v2, v5
	v_lshlrev_b64 v[1:2], 2, v[1:2]
	v_mov_b32_e32 v4, v6
	v_add_co_u32 v1, vcc_lo, s14, v1
	v_lshlrev_b64 v[3:4], 2, v[3:4]
	v_add_co_ci_u32_e32 v2, vcc_lo, s15, v2, vcc_lo
	v_add_co_u32 v1, vcc_lo, v1, v3
	v_add_co_ci_u32_e32 v2, vcc_lo, v2, v4, vcc_lo
	global_load_dword v5, v[1:2], off
	v_add_co_u32 v1, vcc_lo, v1, s0
	v_add_co_ci_u32_e32 v2, vcc_lo, s1, v2, vcc_lo
	s_clause 0x1
	global_load_dword v46, v45, s[8:9]
	global_load_dword v47, v45, s[8:9] offset:1024
	v_add_co_u32 v3, vcc_lo, v1, s0
	v_add_co_ci_u32_e32 v4, vcc_lo, s1, v2, vcc_lo
	global_load_dword v6, v[1:2], off
	v_add_co_u32 v1, vcc_lo, v3, s0
	v_add_co_ci_u32_e32 v2, vcc_lo, s1, v4, vcc_lo
	global_load_dword v7, v[3:4], off
	s_clause 0x1
	global_load_dword v48, v34, s[8:9]
	global_load_dword v49, v35, s[8:9]
	global_load_dword v8, v[1:2], off
	v_add_co_u32 v1, vcc_lo, v1, s0
	v_add_co_ci_u32_e32 v2, vcc_lo, s1, v2, vcc_lo
	global_load_dword v50, v36, s[8:9]
	v_add_co_u32 v3, vcc_lo, v1, s0
	v_add_co_ci_u32_e32 v4, vcc_lo, s1, v2, vcc_lo
	global_load_dword v9, v[1:2], off
	v_add_co_u32 v1, vcc_lo, v3, s0
	v_add_co_ci_u32_e32 v2, vcc_lo, s1, v4, vcc_lo
	global_load_dword v51, v40, s[8:9]
	global_load_dword v10, v[3:4], off
	s_clause 0x1
	global_load_dword v52, v42, s[8:9]
	global_load_dword v53, v43, s[8:9]
	global_load_dword v11, v[1:2], off
	v_add_co_u32 v1, vcc_lo, v1, s0
	v_add_co_ci_u32_e32 v2, vcc_lo, s1, v2, vcc_lo
	global_load_dword v54, v39, s[8:9]
	v_add_co_u32 v3, vcc_lo, v1, s0
	v_add_co_ci_u32_e32 v4, vcc_lo, s1, v2, vcc_lo
	global_load_dword v12, v[1:2], off
	v_add_co_u32 v1, vcc_lo, v3, s0
	v_add_co_ci_u32_e32 v2, vcc_lo, s1, v4, vcc_lo
	s_clause 0x1
	global_load_dword v56, v38, s[8:9]
	global_load_dword v57, v37, s[8:9]
	global_load_dword v13, v[3:4], off
	global_load_dword v58, v63, s[8:9]
	global_load_dword v14, v[1:2], off
	v_add_co_u32 v1, vcc_lo, v1, s0
	v_add_co_ci_u32_e32 v2, vcc_lo, s1, v2, vcc_lo
	s_clause 0x1
	global_load_dword v59, v44, s[8:9]
	global_load_dword v60, v64, s[8:9]
	v_add_co_u32 v3, vcc_lo, v1, s0
	v_add_co_ci_u32_e32 v4, vcc_lo, s1, v2, vcc_lo
	global_load_dword v15, v[1:2], off
	v_add_co_u32 v1, vcc_lo, v3, s0
	v_add_co_ci_u32_e32 v2, vcc_lo, s1, v4, vcc_lo
	global_load_dword v16, v[3:4], off
	;; [unrolled: 3-line block ×5, first 2 shown]
	global_load_dword v2, v[3:4], off
	s_clause 0x1
	global_load_dword v61, v33, s[8:9]
	global_load_dword v55, v32, s[8:9]
	s_load_dwordx4 s[0:3], s[2:3], 0x0
	s_waitcnt vmcnt(31)
	v_lshrrev_b32_e32 v3, 16, v5
	s_waitcnt vmcnt(30)
	v_mul_f16_sdwa v4, v46, v5 dst_sel:DWORD dst_unused:UNUSED_PAD src0_sel:WORD_1 src1_sel:DWORD
	v_mul_f16_sdwa v19, v46, v3 dst_sel:DWORD dst_unused:UNUSED_PAD src0_sel:WORD_1 src1_sel:DWORD
	v_fma_f16 v3, v46, v3, -v4
	s_waitcnt vmcnt(28)
	v_lshrrev_b32_e32 v20, 16, v6
	v_mul_f16_sdwa v21, v47, v6 dst_sel:DWORD dst_unused:UNUSED_PAD src0_sel:WORD_1 src1_sel:DWORD
	v_fmac_f16_e32 v19, v46, v5
	s_waitcnt vmcnt(27)
	v_lshrrev_b32_e32 v5, 16, v7
	v_mul_f16_sdwa v4, v47, v20 dst_sel:DWORD dst_unused:UNUSED_PAD src0_sel:WORD_1 src1_sel:DWORD
	v_fma_f16 v20, v47, v20, -v21
	s_waitcnt vmcnt(26)
	v_mul_f16_sdwa v21, v48, v7 dst_sel:DWORD dst_unused:UNUSED_PAD src0_sel:WORD_1 src1_sel:DWORD
	v_pack_b32_f16 v3, v19, v3
	s_waitcnt vmcnt(24)
	v_lshrrev_b32_e32 v19, 16, v8
	v_fmac_f16_e32 v4, v47, v6
	v_mul_f16_sdwa v6, v48, v5 dst_sel:DWORD dst_unused:UNUSED_PAD src0_sel:WORD_1 src1_sel:DWORD
	v_mul_f16_sdwa v22, v49, v8 dst_sel:DWORD dst_unused:UNUSED_PAD src0_sel:WORD_1 src1_sel:DWORD
	v_fma_f16 v5, v48, v5, -v21
	v_pack_b32_f16 v4, v4, v20
	v_fmac_f16_e32 v6, v48, v7
	v_mul_f16_sdwa v7, v49, v19 dst_sel:DWORD dst_unused:UNUSED_PAD src0_sel:WORD_1 src1_sel:DWORD
	s_waitcnt vmcnt(22)
	v_lshrrev_b32_e32 v20, 16, v9
	v_fma_f16 v19, v49, v19, -v22
	v_mul_f16_sdwa v21, v50, v9 dst_sel:DWORD dst_unused:UNUSED_PAD src0_sel:WORD_1 src1_sel:DWORD
	ds_write2st64_b32 v45, v3, v4 offset1:4
	v_pack_b32_f16 v3, v6, v5
	v_fmac_f16_e32 v7, v49, v8
	v_mul_f16_sdwa v4, v50, v20 dst_sel:DWORD dst_unused:UNUSED_PAD src0_sel:WORD_1 src1_sel:DWORD
	s_waitcnt vmcnt(20)
	v_lshrrev_b32_e32 v5, 16, v10
	v_mul_f16_sdwa v6, v51, v10 dst_sel:DWORD dst_unused:UNUSED_PAD src0_sel:WORD_1 src1_sel:DWORD
	v_fma_f16 v8, v50, v20, -v21
	v_pack_b32_f16 v7, v7, v19
	v_fmac_f16_e32 v4, v50, v9
	v_mul_f16_sdwa v9, v51, v5 dst_sel:DWORD dst_unused:UNUSED_PAD src0_sel:WORD_1 src1_sel:DWORD
	v_fma_f16 v5, v51, v5, -v6
	s_waitcnt vmcnt(17)
	v_lshrrev_b32_e32 v6, 16, v11
	v_mul_f16_sdwa v19, v52, v11 dst_sel:DWORD dst_unused:UNUSED_PAD src0_sel:WORD_1 src1_sel:DWORD
	ds_write2st64_b32 v45, v3, v7 offset0:8 offset1:12
	v_pack_b32_f16 v3, v4, v8
	v_fmac_f16_e32 v9, v51, v10
	v_mul_f16_sdwa v4, v52, v6 dst_sel:DWORD dst_unused:UNUSED_PAD src0_sel:WORD_1 src1_sel:DWORD
	s_waitcnt vmcnt(15)
	v_lshrrev_b32_e32 v7, 16, v12
	v_mul_f16_sdwa v8, v53, v12 dst_sel:DWORD dst_unused:UNUSED_PAD src0_sel:WORD_1 src1_sel:DWORD
	v_fma_f16 v6, v52, v6, -v19
	v_pack_b32_f16 v5, v9, v5
	v_fmac_f16_e32 v4, v52, v11
	v_mul_f16_sdwa v9, v53, v7 dst_sel:DWORD dst_unused:UNUSED_PAD src0_sel:WORD_1 src1_sel:DWORD
	v_fma_f16 v7, v53, v7, -v8
	s_waitcnt vmcnt(12)
	v_lshrrev_b32_e32 v8, 16, v13
	v_mul_f16_sdwa v10, v54, v13 dst_sel:DWORD dst_unused:UNUSED_PAD src0_sel:WORD_1 src1_sel:DWORD
	ds_write2st64_b32 v45, v3, v5 offset0:16 offset1:20
	v_pack_b32_f16 v3, v4, v6
	v_fmac_f16_e32 v9, v53, v12
	v_mul_f16_sdwa v4, v54, v8 dst_sel:DWORD dst_unused:UNUSED_PAD src0_sel:WORD_1 src1_sel:DWORD
	s_waitcnt vmcnt(10)
	v_lshrrev_b32_e32 v5, 16, v14
	v_fma_f16 v6, v54, v8, -v10
	v_mul_f16_sdwa v8, v56, v14 dst_sel:DWORD dst_unused:UNUSED_PAD src0_sel:WORD_1 src1_sel:DWORD
	v_pack_b32_f16 v7, v9, v7
	v_fmac_f16_e32 v4, v54, v13
	v_mul_f16_sdwa v9, v56, v5 dst_sel:DWORD dst_unused:UNUSED_PAD src0_sel:WORD_1 src1_sel:DWORD
	s_waitcnt vmcnt(7)
	v_lshrrev_b32_e32 v10, 16, v15
	v_mul_f16_sdwa v11, v57, v15 dst_sel:DWORD dst_unused:UNUSED_PAD src0_sel:WORD_1 src1_sel:DWORD
	v_fma_f16 v5, v56, v5, -v8
	v_pack_b32_f16 v4, v4, v6
	v_fmac_f16_e32 v9, v56, v14
	v_mul_f16_sdwa v6, v57, v10 dst_sel:DWORD dst_unused:UNUSED_PAD src0_sel:WORD_1 src1_sel:DWORD
	v_fma_f16 v8, v57, v10, -v11
	s_waitcnt vmcnt(6)
	v_lshrrev_b32_e32 v10, 16, v16
	v_mul_f16_sdwa v11, v58, v16 dst_sel:DWORD dst_unused:UNUSED_PAD src0_sel:WORD_1 src1_sel:DWORD
	v_pack_b32_f16 v5, v9, v5
	v_fmac_f16_e32 v6, v57, v15
	s_waitcnt vmcnt(5)
	v_lshrrev_b32_e32 v9, 16, v17
	v_mul_f16_sdwa v12, v58, v10 dst_sel:DWORD dst_unused:UNUSED_PAD src0_sel:WORD_1 src1_sel:DWORD
	v_fma_f16 v10, v58, v10, -v11
	v_mul_f16_sdwa v11, v59, v17 dst_sel:DWORD dst_unused:UNUSED_PAD src0_sel:WORD_1 src1_sel:DWORD
	s_waitcnt vmcnt(4)
	v_lshrrev_b32_e32 v13, 16, v18
	v_pack_b32_f16 v6, v6, v8
	v_mul_f16_sdwa v8, v59, v9 dst_sel:DWORD dst_unused:UNUSED_PAD src0_sel:WORD_1 src1_sel:DWORD
	v_fmac_f16_e32 v12, v58, v16
	v_fma_f16 v9, v59, v9, -v11
	v_mul_f16_sdwa v11, v60, v18 dst_sel:DWORD dst_unused:UNUSED_PAD src0_sel:WORD_1 src1_sel:DWORD
	s_waitcnt vmcnt(3)
	v_lshrrev_b32_e32 v14, 16, v1
	s_waitcnt vmcnt(2)
	v_lshrrev_b32_e32 v16, 16, v2
	v_mul_f16_sdwa v15, v60, v13 dst_sel:DWORD dst_unused:UNUSED_PAD src0_sel:WORD_1 src1_sel:DWORD
	v_fmac_f16_e32 v8, v59, v17
	v_fma_f16 v11, v60, v13, -v11
	s_waitcnt vmcnt(1)
	v_mul_f16_sdwa v13, v61, v1 dst_sel:DWORD dst_unused:UNUSED_PAD src0_sel:WORD_1 src1_sel:DWORD
	v_mul_f16_sdwa v17, v61, v14 dst_sel:DWORD dst_unused:UNUSED_PAD src0_sel:WORD_1 src1_sel:DWORD
	s_waitcnt vmcnt(0)
	v_mul_f16_sdwa v19, v55, v2 dst_sel:DWORD dst_unused:UNUSED_PAD src0_sel:WORD_1 src1_sel:DWORD
	v_mul_f16_sdwa v20, v55, v16 dst_sel:DWORD dst_unused:UNUSED_PAD src0_sel:WORD_1 src1_sel:DWORD
	v_fmac_f16_e32 v15, v60, v18
	v_fma_f16 v13, v61, v14, -v13
	v_fmac_f16_e32 v17, v61, v1
	v_fma_f16 v1, v55, v16, -v19
	v_fmac_f16_e32 v20, v55, v2
	v_pack_b32_f16 v2, v12, v10
	v_pack_b32_f16 v8, v8, v9
	;; [unrolled: 1-line block ×5, first 2 shown]
	ds_write2st64_b32 v45, v3, v7 offset0:24 offset1:28
	ds_write2st64_b32 v45, v4, v5 offset0:32 offset1:36
	;; [unrolled: 1-line block ×5, first 2 shown]
	s_waitcnt lgkmcnt(0)
	s_barrier
	buffer_gl0_inv
	ds_read2st64_b32 v[1:2], v45 offset1:4
	ds_read2st64_b32 v[3:4], v45 offset0:8 offset1:12
	ds_read2st64_b32 v[5:6], v45 offset0:16 offset1:20
	;; [unrolled: 1-line block ×7, first 2 shown]
	v_and_b32_e32 v17, 15, v0
	s_waitcnt lgkmcnt(0)
	s_barrier
	buffer_gl0_inv
	v_mad_u64_u32 v[17:18], null, v17, 60, s[10:11]
	v_pk_add_f16 v9, v1, v9 neg_lo:[0,1] neg_hi:[0,1]
	v_pk_add_f16 v11, v5, v11 neg_lo:[0,1] neg_hi:[0,1]
	;; [unrolled: 1-line block ×8, first 2 shown]
	v_pk_fma_f16 v1, v1, 2.0, v9 op_sel_hi:[1,0,1] neg_lo:[0,0,1] neg_hi:[0,0,1]
	v_pk_fma_f16 v5, v5, 2.0, v11 op_sel_hi:[1,0,1] neg_lo:[0,0,1] neg_hi:[0,0,1]
	;; [unrolled: 1-line block ×4, first 2 shown]
	v_sub_f16_sdwa v19, v9, v11 dst_sel:DWORD dst_unused:UNUSED_PAD src0_sel:DWORD src1_sel:WORD_1
	v_lshrrev_b32_e32 v20, 16, v9
	v_sub_f16_sdwa v21, v13, v15 dst_sel:DWORD dst_unused:UNUSED_PAD src0_sel:DWORD src1_sel:WORD_1
	v_lshrrev_b32_e32 v22, 16, v13
	;; [unrolled: 2-line block ×4, first 2 shown]
	v_pk_fma_f16 v2, v2, 2.0, v10 op_sel_hi:[1,0,1] neg_lo:[0,0,1] neg_hi:[0,0,1]
	v_pk_fma_f16 v6, v6, 2.0, v12 op_sel_hi:[1,0,1] neg_lo:[0,0,1] neg_hi:[0,0,1]
	;; [unrolled: 1-line block ×4, first 2 shown]
	v_pk_add_f16 v5, v1, v5 neg_lo:[0,1] neg_hi:[0,1]
	v_add_f16_e32 v11, v20, v11
	v_pk_add_f16 v7, v3, v7 neg_lo:[0,1] neg_hi:[0,1]
	v_add_f16_e32 v15, v22, v15
	v_add_f16_e32 v16, v26, v16
	v_fmamk_f16 v27, v21, 0x39a8, v19
	v_fmamk_f16 v28, v25, 0x39a8, v23
	v_add_f16_e32 v12, v24, v12
	v_pk_add_f16 v6, v2, v6 neg_lo:[0,1] neg_hi:[0,1]
	v_pk_add_f16 v8, v4, v8 neg_lo:[0,1] neg_hi:[0,1]
	v_fma_f16 v9, v9, 2.0, -v19
	v_fma_f16 v13, v13, 2.0, -v21
	;; [unrolled: 1-line block ×4, first 2 shown]
	v_fmac_f16_e32 v27, 0xb9a8, v15
	v_fmac_f16_e32 v28, 0xb9a8, v16
	v_fmamk_f16 v29, v15, 0x39a8, v11
	v_fmamk_f16 v30, v16, 0x39a8, v12
	v_sub_f16_sdwa v62, v5, v7 dst_sel:DWORD dst_unused:UNUSED_PAD src0_sel:DWORD src1_sel:WORD_1
	v_fma_f16 v20, v20, 2.0, -v11
	v_fma_f16 v15, v22, 2.0, -v15
	;; [unrolled: 1-line block ×4, first 2 shown]
	v_lshrrev_b32_e32 v65, 16, v6
	v_sub_f16_sdwa v66, v6, v8 dst_sel:DWORD dst_unused:UNUSED_PAD src0_sel:DWORD src1_sel:WORD_1
	v_lshrrev_b32_e32 v67, 16, v5
	v_pk_fma_f16 v3, v3, 2.0, v7 op_sel_hi:[1,0,1] neg_lo:[0,0,1] neg_hi:[0,0,1]
	v_pk_fma_f16 v1, v1, 2.0, v5 op_sel_hi:[1,0,1] neg_lo:[0,0,1] neg_hi:[0,0,1]
	v_fmamk_f16 v24, v13, 0xb9a8, v9
	v_fmamk_f16 v26, v14, 0xb9a8, v10
	v_fmac_f16_e32 v29, 0x39a8, v21
	v_fmac_f16_e32 v30, 0x39a8, v25
	v_fma_f16 v69, v5, 2.0, -v62
	v_fmamk_f16 v70, v15, 0xb9a8, v20
	v_fmamk_f16 v5, v16, 0xb9a8, v22
	v_pk_fma_f16 v4, v4, 2.0, v8 op_sel_hi:[1,0,1] neg_lo:[0,0,1] neg_hi:[0,0,1]
	v_pk_fma_f16 v2, v2, 2.0, v6 op_sel_hi:[1,0,1] neg_lo:[0,0,1] neg_hi:[0,0,1]
	v_add_f16_e32 v8, v65, v8
	v_fmamk_f16 v21, v66, 0x39a8, v62
	v_fmamk_f16 v25, v28, 0x3b64, v27
	v_add_f16_e32 v68, v67, v7
	v_pk_add_f16 v3, v1, v3 neg_lo:[0,1] neg_hi:[0,1]
	v_fma_f16 v19, v19, 2.0, -v27
	v_fma_f16 v23, v23, 2.0, -v28
	v_fmac_f16_e32 v24, 0xb9a8, v15
	v_fmac_f16_e32 v26, 0xb9a8, v16
	v_fmamk_f16 v16, v30, 0x3b64, v29
	v_fmac_f16_e32 v70, 0x39a8, v13
	v_fmac_f16_e32 v5, 0x39a8, v14
	v_pk_add_f16 v4, v2, v4 neg_lo:[0,1] neg_hi:[0,1]
	v_fma_f16 v6, v6, 2.0, -v66
	v_fmac_f16_e32 v21, 0xb9a8, v8
	v_fmac_f16_e32 v25, 0xb61f, v30
	v_fmamk_f16 v15, v8, 0x39a8, v68
	v_lshrrev_b32_e32 v71, 16, v3
	v_fma_f16 v67, v67, 2.0, -v68
	v_fma_f16 v7, v65, 2.0, -v8
	;; [unrolled: 1-line block ×4, first 2 shown]
	v_fmamk_f16 v12, v23, 0xb61f, v19
	v_fma_f16 v14, v9, 2.0, -v24
	v_fma_f16 v10, v10, 2.0, -v26
	v_fmac_f16_e32 v16, 0x361f, v28
	v_fma_f16 v9, v22, 2.0, -v5
	v_fma_f16 v20, v20, 2.0, -v70
	v_pk_fma_f16 v65, v1, 2.0, v3 op_sel_hi:[1,0,1] neg_lo:[0,0,1] neg_hi:[0,0,1]
	v_pk_fma_f16 v1, v2, 2.0, v4 op_sel_hi:[1,0,1] neg_lo:[0,0,1] neg_hi:[0,0,1]
	v_fmamk_f16 v2, v26, 0x361f, v24
	v_fmamk_f16 v22, v5, 0x361f, v70
	v_sub_f16_sdwa v72, v3, v4 dst_sel:DWORD dst_unused:UNUSED_PAD src0_sel:DWORD src1_sel:WORD_1
	v_fmamk_f16 v30, v6, 0xb9a8, v69
	v_fmac_f16_e32 v15, 0x39a8, v66
	v_fma_f16 v13, v62, 2.0, -v21
	v_fma_f16 v27, v27, 2.0, -v25
	v_add_f16_e32 v4, v71, v4
	v_fmac_f16_e32 v12, 0xbb64, v8
	v_fmamk_f16 v28, v8, 0xb61f, v11
	v_fmamk_f16 v62, v7, 0xb9a8, v67
	;; [unrolled: 1-line block ×3, first 2 shown]
	v_pack_b32_f16 v8, v25, v16
	v_fmamk_f16 v25, v9, 0xbb64, v20
	v_fmac_f16_e32 v2, 0xbb64, v5
	v_fmac_f16_e32 v22, 0x3b64, v26
	v_fma_f16 v3, v3, 2.0, -v72
	v_fmac_f16_e32 v30, 0xb9a8, v7
	v_pack_b32_f16 v7, v21, v15
	v_fma_f16 v15, v68, 2.0, -v15
	v_fma_f16 v21, v71, 2.0, -v4
	v_fmac_f16_e32 v28, 0x3b64, v23
	v_fmac_f16_e32 v62, 0x39a8, v6
	;; [unrolled: 1-line block ×4, first 2 shown]
	v_fma_f16 v16, v29, 2.0, -v16
	v_fma_f16 v24, v24, 2.0, -v2
	v_pack_b32_f16 v6, v2, v22
	v_fma_f16 v2, v70, 2.0, -v22
	v_pk_add_f16 v1, v65, v1 neg_lo:[0,1] neg_hi:[0,1]
	v_fma_f16 v23, v69, 2.0, -v30
	v_fma_f16 v19, v19, 2.0, -v12
	v_pack_b32_f16 v15, v13, v15
	v_pack_b32_f16 v13, v3, v21
	v_fma_f16 v11, v11, 2.0, -v28
	v_fma_f16 v10, v67, 2.0, -v62
	;; [unrolled: 1-line block ×4, first 2 shown]
	v_pack_b32_f16 v5, v72, v4
	v_pack_b32_f16 v16, v27, v16
	;; [unrolled: 1-line block ×6, first 2 shown]
	v_pk_fma_f16 v9, v65, 2.0, v1 op_sel_hi:[1,0,1] neg_lo:[0,0,1] neg_hi:[0,0,1]
	v_pack_b32_f16 v12, v19, v11
	v_pack_b32_f16 v11, v23, v10
	;; [unrolled: 1-line block ×3, first 2 shown]
	ds_write_b128 v41, v[5:8] offset:48
	ds_write_b128 v41, v[13:16] offset:16
	;; [unrolled: 1-line block ×3, first 2 shown]
	ds_write_b128 v41, v[9:12]
	s_waitcnt lgkmcnt(0)
	s_barrier
	buffer_gl0_inv
	s_clause 0x3
	global_load_dwordx4 v[1:4], v[17:18], off
	global_load_dwordx4 v[5:8], v[17:18], off offset:16
	global_load_dwordx4 v[9:12], v[17:18], off offset:32
	global_load_dwordx3 v[25:27], v[17:18], off offset:48
	ds_read2st64_b32 v[13:14], v45 offset0:8 offset1:12
	v_lshl_or_b32 v21, v0, 4, v0
	ds_read2st64_b32 v[15:16], v45 offset0:16 offset1:20
	ds_read2st64_b32 v[17:18], v45 offset0:24 offset1:28
	;; [unrolled: 1-line block ×3, first 2 shown]
	v_mad_u64_u32 v[67:68], null, v0, 60, s[10:11]
	v_and_b32_e32 v30, 0xf0f, v21
	ds_read2st64_b32 v[21:22], v45 offset0:40 offset1:44
	ds_read2st64_b32 v[23:24], v45 offset0:48 offset1:52
	;; [unrolled: 1-line block ×3, first 2 shown]
	ds_read2st64_b32 v[65:66], v45 offset1:4
	s_waitcnt vmcnt(0) lgkmcnt(0)
	s_barrier
	v_lshlrev_b32_e32 v62, 2, v30
	buffer_gl0_inv
	v_lshrrev_b32_e32 v30, 16, v13
	v_lshrrev_b32_e32 v69, 16, v14
	;; [unrolled: 1-line block ×16, first 2 shown]
	v_mul_f16_sdwa v84, v30, v2 dst_sel:DWORD dst_unused:UNUSED_PAD src0_sel:DWORD src1_sel:WORD_1
	v_mul_f16_sdwa v85, v69, v3 dst_sel:DWORD dst_unused:UNUSED_PAD src0_sel:DWORD src1_sel:WORD_1
	;; [unrolled: 1-line block ×23, first 2 shown]
	v_fma_f16 v13, v13, v2, -v84
	v_fma_f16 v14, v14, v3, -v85
	v_mul_f16_sdwa v84, v24, v25 dst_sel:DWORD dst_unused:UNUSED_PAD src0_sel:DWORD src1_sel:WORD_1
	v_mul_f16_sdwa v85, v80, v26 dst_sel:DWORD dst_unused:UNUSED_PAD src0_sel:DWORD src1_sel:WORD_1
	v_fma_f16 v15, v15, v4, -v87
	v_fma_f16 v16, v16, v5, -v88
	v_mul_f16_sdwa v87, v81, v27 dst_sel:DWORD dst_unused:UNUSED_PAD src0_sel:DWORD src1_sel:WORD_1
	v_mul_f16_sdwa v88, v28, v26 dst_sel:DWORD dst_unused:UNUSED_PAD src0_sel:DWORD src1_sel:WORD_1
	;; [unrolled: 4-line block ×3, first 2 shown]
	v_fma_f16 v19, v19, v8, -v96
	v_mul_f16_sdwa v96, v82, v1 dst_sel:DWORD dst_unused:UNUSED_PAD src0_sel:DWORD src1_sel:WORD_1
	v_fma_f16 v20, v20, v9, -v97
	v_fma_f16 v21, v21, v10, -v100
	;; [unrolled: 1-line block ×7, first 2 shown]
	v_fmac_f16_e32 v86, v30, v2
	v_fmac_f16_e32 v89, v69, v3
	;; [unrolled: 1-line block ×15, first 2 shown]
	v_fma_f16 v30, v66, v1, -v96
	v_sub_f16_e32 v19, v65, v19
	v_sub_f16_e32 v66, v83, v98
	;; [unrolled: 1-line block ×16, first 2 shown]
	v_fma_f16 v65, v65, 2.0, -v19
	v_fma_f16 v76, v83, 2.0, -v66
	;; [unrolled: 1-line block ×16, first 2 shown]
	v_sub_f16_e32 v69, v19, v69
	v_add_f16_e32 v23, v66, v23
	v_sub_f16_e32 v71, v21, v71
	v_add_f16_e32 v28, v70, v28
	;; [unrolled: 2-line block ×4, first 2 shown]
	v_sub_f16_e32 v15, v65, v15
	v_sub_f16_e32 v77, v76, v77
	v_sub_f16_e32 v17, v13, v17
	v_sub_f16_e32 v79, v78, v79
	v_sub_f16_e32 v16, v30, v16
	v_sub_f16_e32 v81, v80, v81
	v_fmamk_f16 v84, v71, 0x39a8, v69
	v_sub_f16_e32 v18, v14, v18
	v_sub_f16_e32 v83, v82, v83
	v_fmamk_f16 v85, v28, 0x39a8, v23
	v_fma_f16 v70, v70, 2.0, -v28
	v_fmamk_f16 v86, v75, 0x39a8, v73
	v_fma_f16 v21, v21, 2.0, -v71
	;; [unrolled: 2-line block ×3, first 2 shown]
	v_fma_f16 v66, v66, 2.0, -v23
	v_fma_f16 v20, v20, 2.0, -v73
	;; [unrolled: 1-line block ×5, first 2 shown]
	v_fmac_f16_e32 v84, 0xb9a8, v28
	v_fmac_f16_e32 v85, 0x39a8, v71
	v_fmac_f16_e32 v86, 0xb9a8, v29
	v_fmac_f16_e32 v87, 0x39a8, v75
	v_sub_f16_e32 v28, v15, v79
	v_sub_f16_e32 v29, v16, v83
	v_fma_f16 v71, v78, 2.0, -v79
	v_fma_f16 v14, v14, 2.0, -v18
	v_fmamk_f16 v75, v21, 0xb9a8, v19
	v_add_f16_e32 v18, v81, v18
	v_fma_f16 v78, v82, 2.0, -v83
	v_fmamk_f16 v79, v70, 0xb9a8, v66
	v_fma_f16 v13, v13, 2.0, -v17
	v_fmamk_f16 v82, v22, 0xb9a8, v20
	v_add_f16_e32 v17, v77, v17
	v_fmamk_f16 v83, v74, 0xb9a8, v72
	v_fma_f16 v30, v30, 2.0, -v16
	v_fma_f16 v80, v80, 2.0, -v81
	;; [unrolled: 1-line block ×4, first 2 shown]
	v_fmac_f16_e32 v75, 0xb9a8, v70
	v_fmac_f16_e32 v79, 0x39a8, v21
	;; [unrolled: 1-line block ×3, first 2 shown]
	v_fmamk_f16 v21, v29, 0x39a8, v28
	v_fmac_f16_e32 v83, 0x39a8, v22
	v_fmamk_f16 v22, v18, 0x39a8, v17
	v_fma_f16 v70, v81, 2.0, -v18
	v_fmamk_f16 v74, v86, 0x3b64, v84
	v_fma_f16 v16, v16, 2.0, -v29
	;; [unrolled: 2-line block ×3, first 2 shown]
	v_fma_f16 v15, v15, 2.0, -v28
	v_fma_f16 v69, v69, 2.0, -v84
	;; [unrolled: 1-line block ×5, first 2 shown]
	v_sub_f16_e32 v13, v65, v13
	v_sub_f16_e32 v71, v76, v71
	v_sub_f16_e32 v14, v30, v14
	v_sub_f16_e32 v78, v80, v78
	v_fmac_f16_e32 v21, 0xb9a8, v18
	v_fmac_f16_e32 v22, 0x39a8, v29
	;; [unrolled: 1-line block ×4, first 2 shown]
	v_fmamk_f16 v18, v16, 0xb9a8, v15
	v_fmamk_f16 v86, v73, 0xb61f, v69
	v_fma_f16 v20, v20, 2.0, -v82
	v_fma_f16 v72, v72, 2.0, -v83
	;; [unrolled: 1-line block ×4, first 2 shown]
	v_fmamk_f16 v29, v70, 0xb9a8, v77
	v_fmamk_f16 v87, v24, 0xb61f, v23
	;; [unrolled: 1-line block ×4, first 2 shown]
	v_fma_f16 v80, v80, 2.0, -v78
	v_sub_f16_e32 v78, v13, v78
	v_fma_f16 v30, v30, 2.0, -v14
	v_add_f16_e32 v14, v71, v14
	v_fma_f16 v65, v65, 2.0, -v13
	v_fma_f16 v76, v76, 2.0, -v71
	;; [unrolled: 1-line block ×3, first 2 shown]
	v_pack_b32_f16 v21, v21, v22
	v_fma_f16 v17, v17, 2.0, -v22
	v_fma_f16 v22, v84, 2.0, -v74
	v_pack_b32_f16 v74, v74, v81
	v_fma_f16 v81, v85, 2.0, -v81
	v_fmac_f16_e32 v18, 0xb9a8, v70
	v_fmac_f16_e32 v86, 0xbb64, v24
	v_fmamk_f16 v24, v20, 0xbb64, v19
	v_fmamk_f16 v70, v72, 0xbb64, v66
	v_fmac_f16_e32 v29, 0x39a8, v16
	v_fmac_f16_e32 v87, 0x3b64, v73
	;; [unrolled: 1-line block ×4, first 2 shown]
	v_pack_b32_f16 v16, v78, v14
	v_fma_f16 v14, v71, 2.0, -v14
	v_sub_f16_e32 v30, v65, v30
	v_sub_f16_e32 v71, v76, v80
	ds_write2_b32 v62, v21, v74 offset0:224 offset1:240
	v_pack_b32_f16 v17, v28, v17
	v_pack_b32_f16 v21, v22, v81
	v_fmac_f16_e32 v24, 0xb61f, v72
	v_fmac_f16_e32 v70, 0x361f, v20
	v_pack_b32_f16 v22, v18, v29
	v_pack_b32_f16 v28, v86, v87
	v_fma_f16 v15, v15, 2.0, -v18
	v_fma_f16 v18, v77, 2.0, -v29
	;; [unrolled: 1-line block ×9, first 2 shown]
	ds_write2_b32 v62, v17, v21 offset0:96 offset1:112
	ds_write2_b32 v62, v22, v28 offset0:160 offset1:176
	v_fma_f16 v19, v19, 2.0, -v24
	v_fma_f16 v21, v66, 2.0, -v70
	v_pack_b32_f16 v73, v88, v89
	v_pack_b32_f16 v15, v15, v18
	;; [unrolled: 1-line block ×9, first 2 shown]
	ds_write2_b32 v62, v16, v73 offset0:192 offset1:208
	ds_write2_b32 v62, v15, v18 offset0:32 offset1:48
	;; [unrolled: 1-line block ×4, first 2 shown]
	ds_write2_b32 v62, v17, v19 offset1:16
	s_waitcnt lgkmcnt(0)
	s_barrier
	buffer_gl0_inv
	s_clause 0x3
	global_load_dwordx4 v[13:16], v[67:68], off offset:960
	global_load_dwordx4 v[17:20], v[67:68], off offset:976
	;; [unrolled: 1-line block ×3, first 2 shown]
	global_load_dwordx3 v[28:30], v[67:68], off offset:1008
	ds_read2st64_b32 v[65:66], v45 offset0:8 offset1:12
	ds_read2st64_b32 v[67:68], v45 offset0:16 offset1:20
	;; [unrolled: 1-line block ×7, first 2 shown]
	s_waitcnt lgkmcnt(6)
	v_lshrrev_b32_e32 v79, 16, v65
	v_lshrrev_b32_e32 v80, 16, v66
	s_waitcnt lgkmcnt(5)
	v_lshrrev_b32_e32 v81, 16, v67
	v_lshrrev_b32_e32 v82, 16, v68
	;; [unrolled: 3-line block ×4, first 2 shown]
	v_lshrrev_b32_e32 v85, 16, v71
	v_lshrrev_b32_e32 v86, 16, v72
	s_waitcnt lgkmcnt(1)
	v_lshrrev_b32_e32 v89, 16, v75
	v_lshrrev_b32_e32 v90, 16, v76
	s_waitcnt lgkmcnt(0)
	v_lshrrev_b32_e32 v91, 16, v77
	v_lshrrev_b32_e32 v92, 16, v78
	s_waitcnt vmcnt(3)
	v_mul_f16_sdwa v93, v79, v14 dst_sel:DWORD dst_unused:UNUSED_PAD src0_sel:DWORD src1_sel:WORD_1
	v_mul_f16_sdwa v94, v80, v15 dst_sel:DWORD dst_unused:UNUSED_PAD src0_sel:DWORD src1_sel:WORD_1
	;; [unrolled: 1-line block ×5, first 2 shown]
	s_waitcnt vmcnt(2)
	v_mul_f16_sdwa v98, v82, v17 dst_sel:DWORD dst_unused:UNUSED_PAD src0_sel:DWORD src1_sel:WORD_1
	v_mul_f16_sdwa v101, v83, v18 dst_sel:DWORD dst_unused:UNUSED_PAD src0_sel:DWORD src1_sel:WORD_1
	;; [unrolled: 1-line block ×3, first 2 shown]
	v_fma_f16 v93, v65, v14, -v93
	v_fma_f16 v94, v66, v15, -v94
	s_waitcnt vmcnt(1)
	v_mul_f16_sdwa v65, v87, v22 dst_sel:DWORD dst_unused:UNUSED_PAD src0_sel:DWORD src1_sel:WORD_1
	v_mul_f16_sdwa v66, v88, v23 dst_sel:DWORD dst_unused:UNUSED_PAD src0_sel:DWORD src1_sel:WORD_1
	;; [unrolled: 1-line block ×8, first 2 shown]
	v_fma_f16 v67, v67, v16, -v97
	v_fma_f16 v68, v68, v17, -v98
	;; [unrolled: 1-line block ×4, first 2 shown]
	v_mul_f16_sdwa v97, v73, v22 dst_sel:DWORD dst_unused:UNUSED_PAD src0_sel:DWORD src1_sel:WORD_1
	v_mul_f16_sdwa v98, v74, v23 dst_sel:DWORD dst_unused:UNUSED_PAD src0_sel:DWORD src1_sel:WORD_1
	v_mul_f16_sdwa v101, v89, v24 dst_sel:DWORD dst_unused:UNUSED_PAD src0_sel:DWORD src1_sel:WORD_1
	s_waitcnt vmcnt(0)
	v_mul_f16_sdwa v102, v90, v28 dst_sel:DWORD dst_unused:UNUSED_PAD src0_sel:DWORD src1_sel:WORD_1
	v_fma_f16 v73, v73, v22, -v65
	v_fma_f16 v74, v74, v23, -v66
	v_mul_f16_sdwa v65, v91, v29 dst_sel:DWORD dst_unused:UNUSED_PAD src0_sel:DWORD src1_sel:WORD_1
	v_mul_f16_sdwa v66, v92, v30 dst_sel:DWORD dst_unused:UNUSED_PAD src0_sel:DWORD src1_sel:WORD_1
	;; [unrolled: 1-line block ×4, first 2 shown]
	v_fma_f16 v71, v71, v20, -v103
	v_fma_f16 v72, v72, v21, -v106
	v_mul_f16_sdwa v103, v75, v24 dst_sel:DWORD dst_unused:UNUSED_PAD src0_sel:DWORD src1_sel:WORD_1
	v_mul_f16_sdwa v106, v76, v28 dst_sel:DWORD dst_unused:UNUSED_PAD src0_sel:DWORD src1_sel:WORD_1
	v_fma_f16 v75, v75, v24, -v101
	v_fma_f16 v76, v76, v28, -v102
	;; [unrolled: 1-line block ×4, first 2 shown]
	ds_read2st64_b32 v[65:66], v45 offset1:4
	v_fmac_f16_e32 v95, v79, v14
	v_mul_f16_sdwa v77, v77, v29 dst_sel:DWORD dst_unused:UNUSED_PAD src0_sel:DWORD src1_sel:WORD_1
	v_mul_f16_sdwa v78, v78, v30 dst_sel:DWORD dst_unused:UNUSED_PAD src0_sel:DWORD src1_sel:WORD_1
	v_fmac_f16_e32 v99, v81, v16
	v_fmac_f16_e32 v100, v82, v17
	;; [unrolled: 1-line block ×13, first 2 shown]
	v_sub_f16_e32 v75, v67, v75
	v_sub_f16_e32 v73, v93, v73
	;; [unrolled: 1-line block ×3, first 2 shown]
	s_waitcnt lgkmcnt(0)
	v_lshrrev_b32_e32 v79, 16, v66
	v_mul_f16_sdwa v81, v66, v13 dst_sel:DWORD dst_unused:UNUSED_PAD src0_sel:DWORD src1_sel:WORD_1
	v_lshrrev_b32_e32 v80, 16, v65
	v_sub_f16_e32 v71, v65, v71
	v_sub_f16_e32 v84, v69, v101
	v_mul_f16_sdwa v82, v79, v13 dst_sel:DWORD dst_unused:UNUSED_PAD src0_sel:DWORD src1_sel:WORD_1
	v_fmac_f16_e32 v81, v79, v13
	v_sub_f16_e32 v79, v80, v107
	v_sub_f16_e32 v77, v104, v77
	;; [unrolled: 1-line block ×3, first 2 shown]
	v_fma_f16 v66, v66, v13, -v82
	v_sub_f16_e32 v82, v99, v103
	v_sub_f16_e32 v85, v81, v108
	;; [unrolled: 1-line block ×8, first 2 shown]
	v_fma_f16 v65, v65, 2.0, -v71
	v_fma_f16 v80, v80, 2.0, -v79
	;; [unrolled: 1-line block ×16, first 2 shown]
	v_sub_f16_e32 v82, v71, v82
	v_add_f16_e32 v75, v79, v75
	v_sub_f16_e32 v77, v73, v77
	v_add_f16_e32 v84, v83, v84
	v_sub_f16_e32 v86, v72, v86
	v_add_f16_e32 v76, v85, v76
	v_sub_f16_e32 v78, v74, v78
	v_add_f16_e32 v88, v87, v88
	v_sub_f16_e32 v67, v65, v67
	v_sub_f16_e32 v89, v80, v89
	;; [unrolled: 1-line block ×8, first 2 shown]
	v_fmamk_f16 v97, v77, 0x39a8, v82
	v_fmamk_f16 v98, v84, 0x39a8, v75
	;; [unrolled: 1-line block ×4, first 2 shown]
	v_fma_f16 v73, v73, 2.0, -v77
	v_fma_f16 v83, v83, 2.0, -v84
	;; [unrolled: 1-line block ×8, first 2 shown]
	v_fmac_f16_e32 v97, 0xb9a8, v84
	v_fmac_f16_e32 v98, 0x39a8, v77
	;; [unrolled: 1-line block ×4, first 2 shown]
	v_sub_f16_e32 v77, v67, v92
	v_sub_f16_e32 v78, v68, v96
	v_add_f16_e32 v84, v93, v70
	v_add_f16_e32 v88, v89, v69
	v_fma_f16 v69, v90, 2.0, -v69
	v_fma_f16 v90, v91, 2.0, -v92
	;; [unrolled: 1-line block ×8, first 2 shown]
	v_fmamk_f16 v92, v73, 0xb9a8, v71
	v_fmamk_f16 v94, v83, 0xb9a8, v79
	;; [unrolled: 1-line block ×4, first 2 shown]
	v_fma_f16 v89, v89, 2.0, -v88
	v_fma_f16 v93, v93, 2.0, -v84
	v_fmac_f16_e32 v92, 0xb9a8, v83
	v_fmac_f16_e32 v94, 0x39a8, v73
	v_fmac_f16_e32 v95, 0xb9a8, v87
	v_fmac_f16_e32 v96, 0x39a8, v74
	v_sub_f16_e32 v73, v81, v91
	v_sub_f16_e32 v69, v65, v69
	;; [unrolled: 1-line block ×4, first 2 shown]
	v_fmamk_f16 v101, v78, 0x39a8, v77
	v_fmamk_f16 v102, v84, 0x39a8, v88
	v_fma_f16 v67, v67, 2.0, -v77
	v_fma_f16 v68, v68, 2.0, -v78
	;; [unrolled: 1-line block ×6, first 2 shown]
	v_fmamk_f16 v83, v93, 0xb9a8, v89
	v_fma_f16 v85, v85, 2.0, -v96
	v_fma_f16 v72, v72, 2.0, -v95
	;; [unrolled: 1-line block ×3, first 2 shown]
	v_sub_f16_e32 v73, v69, v73
	v_fma_f16 v66, v66, 2.0, -v70
	v_add_f16_e32 v70, v74, v70
	v_fma_f16 v71, v71, 2.0, -v92
	v_fma_f16 v79, v79, 2.0, -v94
	v_fmamk_f16 v103, v99, 0x3b64, v97
	v_fmamk_f16 v104, v100, 0x3b64, v98
	v_fmac_f16_e32 v101, 0xb9a8, v84
	v_fmac_f16_e32 v102, 0x39a8, v78
	v_fmamk_f16 v78, v68, 0xb9a8, v67
	v_fmamk_f16 v84, v86, 0xb61f, v82
	;; [unrolled: 1-line block ×5, first 2 shown]
	v_fma_f16 v65, v65, 2.0, -v69
	v_fma_f16 v80, v80, 2.0, -v74
	v_fmac_f16_e32 v83, 0x39a8, v68
	v_fma_f16 v68, v69, 2.0, -v73
	v_pack_b32_f16 v69, v73, v70
	v_fma_f16 v70, v74, 2.0, -v70
	v_fmamk_f16 v73, v72, 0xbb64, v71
	v_fmamk_f16 v74, v85, 0xbb64, v79
	v_fmac_f16_e32 v103, 0xb61f, v100
	v_fmac_f16_e32 v104, 0x361f, v99
	v_fmac_f16_e32 v78, 0xb9a8, v93
	v_fmac_f16_e32 v84, 0xbb64, v76
	v_fmac_f16_e32 v87, 0x3b64, v86
	v_fmac_f16_e32 v90, 0xbb64, v96
	v_fmac_f16_e32 v91, 0x3b64, v95
	v_sub_f16_e32 v66, v65, v66
	v_sub_f16_e32 v76, v80, v81
	v_fmac_f16_e32 v73, 0xb61f, v85
	v_fmac_f16_e32 v74, 0x361f, v72
	v_fma_f16 v77, v77, 2.0, -v101
	v_fma_f16 v88, v88, 2.0, -v102
	;; [unrolled: 1-line block ×5, first 2 shown]
	v_pack_b32_f16 v78, v78, v83
	v_fma_f16 v83, v89, 2.0, -v83
	v_fma_f16 v82, v82, 2.0, -v84
	;; [unrolled: 1-line block ×3, first 2 shown]
	v_pack_b32_f16 v84, v84, v87
	v_pack_b32_f16 v68, v68, v70
	v_fma_f16 v70, v92, 2.0, -v90
	v_fma_f16 v87, v94, 2.0, -v91
	v_fma_f16 v65, v65, 2.0, -v66
	v_pack_b32_f16 v66, v66, v76
	v_fma_f16 v72, v80, 2.0, -v76
	v_fma_f16 v71, v71, 2.0, -v73
	;; [unrolled: 1-line block ×3, first 2 shown]
	v_pack_b32_f16 v99, v101, v102
	v_pack_b32_f16 v100, v103, v104
	;; [unrolled: 1-line block ×11, first 2 shown]
	ds_write2st64_b32 v45, v99, v100 offset0:56 offset1:60
	ds_write2st64_b32 v45, v77, v81 offset0:24 offset1:28
	;; [unrolled: 1-line block ×7, first 2 shown]
	ds_write2st64_b32 v45, v65, v71 offset1:4
	s_waitcnt lgkmcnt(0)
	s_barrier
	buffer_gl0_inv
	s_clause 0xf
	global_load_dword v69, v45, s[6:7]
	global_load_dword v68, v45, s[6:7] offset:1024
	global_load_dword v67, v34, s[6:7]
	global_load_dword v66, v35, s[6:7]
	;; [unrolled: 1-line block ×14, first 2 shown]
	v_mad_u64_u32 v[63:64], null, s0, v0, 0
	v_mad_u64_u32 v[32:33], null, s2, v31, 0
	v_mov_b32_e32 v34, v64
	v_mad_u64_u32 v[70:71], null, s3, v31, v[33:34]
	v_mov_b32_e32 v33, v70
	v_lshlrev_b64 v[31:32], 2, v[32:33]
	s_waitcnt vmcnt(8)
	v_mad_u64_u32 v[71:72], null, s1, v0, v[34:35]
	v_add_co_u32 v0, vcc_lo, s4, v31
	v_add_co_ci_u32_e32 v32, vcc_lo, s5, v32, vcc_lo
	s_lshl_b64 s[0:1], s[0:1], 10
	v_mov_b32_e32 v64, v71
	v_lshlrev_b64 v[33:34], 2, v[63:64]
	ds_read2st64_b32 v[63:64], v45 offset1:4
	ds_read2st64_b32 v[70:71], v45 offset0:8 offset1:12
	ds_read2st64_b32 v[72:73], v45 offset0:16 offset1:20
	ds_read2st64_b32 v[74:75], v45 offset0:24 offset1:28
	ds_read2st64_b32 v[76:77], v45 offset0:32 offset1:36
	ds_read2st64_b32 v[78:79], v45 offset0:40 offset1:44
	ds_read2st64_b32 v[80:81], v45 offset0:48 offset1:52
	ds_read2st64_b32 v[82:83], v45 offset0:56 offset1:60
	v_add_co_u32 v31, vcc_lo, v0, v33
	v_add_co_ci_u32_e32 v32, vcc_lo, v32, v34, vcc_lo
	v_add_co_u32 v33, vcc_lo, v31, s0
	v_add_co_ci_u32_e32 v34, vcc_lo, s1, v32, vcc_lo
	s_waitcnt lgkmcnt(7)
	v_lshrrev_b32_e32 v0, 16, v63
	v_lshrrev_b32_e32 v86, 16, v64
	s_waitcnt lgkmcnt(6)
	v_lshrrev_b32_e32 v87, 16, v70
	v_lshrrev_b32_e32 v88, 16, v71
	s_waitcnt lgkmcnt(5)
	v_lshrrev_b32_e32 v90, 16, v73
	s_waitcnt lgkmcnt(4)
	v_lshrrev_b32_e32 v91, 16, v74
	v_lshrrev_b32_e32 v92, 16, v75
	v_mul_f16_sdwa v101, v63, v69 dst_sel:DWORD dst_unused:UNUSED_PAD src0_sel:DWORD src1_sel:WORD_1
	v_mul_f16_sdwa v102, v0, v69 dst_sel:DWORD dst_unused:UNUSED_PAD src0_sel:DWORD src1_sel:WORD_1
	;; [unrolled: 1-line block ×7, first 2 shown]
	v_lshrrev_b32_e32 v89, 16, v72
	s_waitcnt lgkmcnt(3)
	v_lshrrev_b32_e32 v93, 16, v76
	v_lshrrev_b32_e32 v94, 16, v77
	s_waitcnt lgkmcnt(2)
	v_lshrrev_b32_e32 v96, 16, v79
	s_waitcnt lgkmcnt(1)
	v_lshrrev_b32_e32 v97, 16, v80
	v_lshrrev_b32_e32 v98, 16, v81
	s_waitcnt lgkmcnt(0)
	v_lshrrev_b32_e32 v100, 16, v83
	v_fmac_f16_e32 v101, v0, v69
	v_mul_f16_sdwa v0, v71, v66 dst_sel:DWORD dst_unused:UNUSED_PAD src0_sel:DWORD src1_sel:WORD_1
	v_fma_f16 v63, v63, v69, -v102
	v_mul_f16_sdwa v69, v72, v65 dst_sel:DWORD dst_unused:UNUSED_PAD src0_sel:DWORD src1_sel:WORD_1
	v_fma_f16 v64, v64, v68, -v103
	v_mul_f16_sdwa v103, v90, v40 dst_sel:DWORD dst_unused:UNUSED_PAD src0_sel:DWORD src1_sel:WORD_1
	v_fmac_f16_e32 v104, v86, v68
	v_mul_f16_sdwa v68, v73, v40 dst_sel:DWORD dst_unused:UNUSED_PAD src0_sel:DWORD src1_sel:WORD_1
	v_mul_f16_sdwa v86, v74, v36 dst_sel:DWORD dst_unused:UNUSED_PAD src0_sel:DWORD src1_sel:WORD_1
	v_fmac_f16_e32 v105, v87, v67
	v_mul_f16_sdwa v87, v91, v36 dst_sel:DWORD dst_unused:UNUSED_PAD src0_sel:DWORD src1_sel:WORD_1
	v_fma_f16 v67, v70, v67, -v106
	v_mul_f16_sdwa v70, v92, v35 dst_sel:DWORD dst_unused:UNUSED_PAD src0_sel:DWORD src1_sel:WORD_1
	v_fma_f16 v71, v71, v66, -v107
	v_mul_f16_sdwa v106, v75, v35 dst_sel:DWORD dst_unused:UNUSED_PAD src0_sel:DWORD src1_sel:WORD_1
	s_waitcnt vmcnt(7)
	v_mul_f16_sdwa v107, v76, v39 dst_sel:DWORD dst_unused:UNUSED_PAD src0_sel:DWORD src1_sel:WORD_1
	v_lshrrev_b32_e32 v95, 16, v78
	v_lshrrev_b32_e32 v99, 16, v82
	v_mul_f16_sdwa v102, v89, v65 dst_sel:DWORD dst_unused:UNUSED_PAD src0_sel:DWORD src1_sel:WORD_1
	v_fmac_f16_e32 v0, v88, v66
	v_mul_f16_sdwa v66, v93, v39 dst_sel:DWORD dst_unused:UNUSED_PAD src0_sel:DWORD src1_sel:WORD_1
	s_waitcnt vmcnt(6)
	v_mul_f16_sdwa v88, v94, v38 dst_sel:DWORD dst_unused:UNUSED_PAD src0_sel:DWORD src1_sel:WORD_1
	v_fmac_f16_e32 v69, v89, v65
	v_mul_f16_sdwa v89, v77, v38 dst_sel:DWORD dst_unused:UNUSED_PAD src0_sel:DWORD src1_sel:WORD_1
	v_fma_f16 v73, v73, v40, -v103
	s_waitcnt vmcnt(4)
	v_mul_f16_sdwa v103, v96, v42 dst_sel:DWORD dst_unused:UNUSED_PAD src0_sel:DWORD src1_sel:WORD_1
	v_fmac_f16_e32 v68, v90, v40
	v_mul_f16_sdwa v40, v79, v42 dst_sel:DWORD dst_unused:UNUSED_PAD src0_sel:DWORD src1_sel:WORD_1
	s_waitcnt vmcnt(3)
	v_mul_f16_sdwa v90, v80, v43 dst_sel:DWORD dst_unused:UNUSED_PAD src0_sel:DWORD src1_sel:WORD_1
	v_fmac_f16_e32 v86, v91, v36
	v_mul_f16_sdwa v91, v97, v43 dst_sel:DWORD dst_unused:UNUSED_PAD src0_sel:DWORD src1_sel:WORD_1
	v_fma_f16 v36, v74, v36, -v87
	s_waitcnt vmcnt(2)
	v_mul_f16_sdwa v74, v98, v44 dst_sel:DWORD dst_unused:UNUSED_PAD src0_sel:DWORD src1_sel:WORD_1
	v_fma_f16 v70, v75, v35, -v70
	v_mul_f16_sdwa v75, v81, v44 dst_sel:DWORD dst_unused:UNUSED_PAD src0_sel:DWORD src1_sel:WORD_1
	v_fmac_f16_e32 v106, v92, v35
	s_waitcnt vmcnt(0)
	v_mul_f16_sdwa v92, v100, v85 dst_sel:DWORD dst_unused:UNUSED_PAD src0_sel:DWORD src1_sel:WORD_1
	v_fmac_f16_e32 v107, v93, v39
	v_mul_f16_sdwa v93, v83, v85 dst_sel:DWORD dst_unused:UNUSED_PAD src0_sel:DWORD src1_sel:WORD_1
	v_fma_f16 v65, v72, v65, -v102
	v_mul_f16_sdwa v72, v78, v37 dst_sel:DWORD dst_unused:UNUSED_PAD src0_sel:DWORD src1_sel:WORD_1
	v_mul_f16_sdwa v102, v95, v37 dst_sel:DWORD dst_unused:UNUSED_PAD src0_sel:DWORD src1_sel:WORD_1
	;; [unrolled: 1-line block ×4, first 2 shown]
	v_fma_f16 v39, v76, v39, -v66
	v_fma_f16 v66, v77, v38, -v88
	v_fmac_f16_e32 v89, v94, v38
	v_fma_f16 v38, v79, v42, -v103
	v_fmac_f16_e32 v40, v96, v42
	v_fmac_f16_e32 v90, v97, v43
	v_fma_f16 v42, v80, v43, -v91
	v_fma_f16 v43, v81, v44, -v74
	v_fmac_f16_e32 v75, v98, v44
	v_fma_f16 v44, v83, v85, -v92
	v_fmac_f16_e32 v93, v100, v85
	v_fmac_f16_e32 v72, v95, v37
	v_fma_f16 v37, v78, v37, -v102
	v_fmac_f16_e32 v87, v99, v84
	v_fma_f16 v35, v82, v84, -v35
	v_pack_b32_f16 v63, v63, v101
	v_pack_b32_f16 v64, v64, v104
	;; [unrolled: 1-line block ×16, first 2 shown]
	ds_write2st64_b32 v45, v63, v64 offset1:4
	ds_write2st64_b32 v45, v67, v0 offset0:8 offset1:12
	ds_write2st64_b32 v45, v65, v68 offset0:16 offset1:20
	;; [unrolled: 1-line block ×7, first 2 shown]
	s_waitcnt lgkmcnt(0)
	s_barrier
	buffer_gl0_inv
	ds_read2st64_b32 v[42:43], v45 offset1:4
	ds_read2st64_b32 v[63:64], v45 offset0:32 offset1:36
	ds_read2st64_b32 v[65:66], v45 offset0:16 offset1:20
	;; [unrolled: 1-line block ×7, first 2 shown]
	s_waitcnt lgkmcnt(0)
	s_barrier
	buffer_gl0_inv
	v_add_co_u32 v35, vcc_lo, v33, s0
	v_add_co_ci_u32_e32 v36, vcc_lo, s1, v34, vcc_lo
	v_add_co_u32 v37, vcc_lo, v35, s0
	v_add_co_ci_u32_e32 v38, vcc_lo, s1, v36, vcc_lo
	v_pk_add_f16 v0, v42, v63 neg_lo:[0,1] neg_hi:[0,1]
	v_pk_add_f16 v44, v43, v64 neg_lo:[0,1] neg_hi:[0,1]
	;; [unrolled: 1-line block ×8, first 2 shown]
	v_pk_fma_f16 v42, v42, 2.0, v0 op_sel_hi:[1,0,1] neg_lo:[0,0,1] neg_hi:[0,0,1]
	v_pk_fma_f16 v43, v43, 2.0, v44 op_sel_hi:[1,0,1] neg_lo:[0,0,1] neg_hi:[0,0,1]
	;; [unrolled: 1-line block ×8, first 2 shown]
	v_lshrrev_b32_e32 v75, 16, v67
	v_add_f16_sdwa v76, v67, v71 dst_sel:DWORD dst_unused:UNUSED_PAD src0_sel:DWORD src1_sel:WORD_1
	v_lshrrev_b32_e32 v77, 16, v0
	v_add_f16_sdwa v78, v0, v63 dst_sel:DWORD dst_unused:UNUSED_PAD src0_sel:DWORD src1_sel:WORD_1
	;; [unrolled: 2-line block ×4, first 2 shown]
	v_sub_f16_e32 v71, v75, v71
	v_sub_f16_e32 v63, v77, v63
	v_fmamk_f16 v83, v76, 0x39a8, v78
	v_fma_f16 v67, v67, 2.0, -v76
	v_sub_f16_e32 v72, v79, v72
	v_sub_f16_e32 v64, v81, v64
	v_fmamk_f16 v84, v80, 0x39a8, v82
	v_fma_f16 v68, v68, 2.0, -v80
	v_fma_f16 v0, v0, 2.0, -v78
	v_fma_f16 v44, v44, 2.0, -v82
	v_pk_add_f16 v65, v42, v65 neg_lo:[0,1] neg_hi:[0,1]
	v_pk_add_f16 v73, v69, v73 neg_lo:[0,1] neg_hi:[0,1]
	v_pk_add_f16 v66, v43, v66 neg_lo:[0,1] neg_hi:[0,1]
	v_pk_add_f16 v74, v70, v74 neg_lo:[0,1] neg_hi:[0,1]
	v_fma_f16 v75, v75, 2.0, -v71
	v_fmac_f16_e32 v83, 0x39a8, v71
	v_fmamk_f16 v71, v71, 0x39a8, v63
	v_fma_f16 v79, v79, 2.0, -v72
	v_fmac_f16_e32 v84, 0x39a8, v72
	v_fmamk_f16 v72, v72, 0x39a8, v64
	v_fma_f16 v77, v77, 2.0, -v63
	v_fmamk_f16 v85, v67, 0xb9a8, v0
	v_fma_f16 v81, v81, 2.0, -v64
	v_fmamk_f16 v86, v68, 0xb9a8, v44
	v_lshrrev_b32_e32 v87, 16, v65
	v_add_f16_sdwa v88, v65, v73 dst_sel:DWORD dst_unused:UNUSED_PAD src0_sel:DWORD src1_sel:WORD_1
	v_lshrrev_b32_e32 v89, 16, v66
	v_add_f16_sdwa v90, v66, v74 dst_sel:DWORD dst_unused:UNUSED_PAD src0_sel:DWORD src1_sel:WORD_1
	v_pk_fma_f16 v42, v42, 2.0, v65 op_sel_hi:[1,0,1] neg_lo:[0,0,1] neg_hi:[0,0,1]
	v_pk_fma_f16 v69, v69, 2.0, v73 op_sel_hi:[1,0,1] neg_lo:[0,0,1] neg_hi:[0,0,1]
	;; [unrolled: 1-line block ×3, first 2 shown]
	v_fmac_f16_e32 v71, 0xb9a8, v76
	v_fmac_f16_e32 v72, 0xb9a8, v80
	;; [unrolled: 1-line block ×3, first 2 shown]
	v_fmamk_f16 v76, v75, 0xb9a8, v77
	v_fmac_f16_e32 v86, 0x39a8, v79
	v_fmamk_f16 v75, v79, 0xb9a8, v81
	v_sub_f16_e32 v73, v87, v73
	v_sub_f16_e32 v74, v89, v74
	v_fmamk_f16 v79, v90, 0x39a8, v88
	v_pk_fma_f16 v43, v43, 2.0, v66 op_sel_hi:[1,0,1] neg_lo:[0,0,1] neg_hi:[0,0,1]
	v_pk_add_f16 v69, v42, v69 neg_lo:[0,1] neg_hi:[0,1]
	v_fmamk_f16 v80, v84, 0x3b64, v83
	v_fma_f16 v65, v65, 2.0, -v88
	v_fma_f16 v78, v78, 2.0, -v83
	;; [unrolled: 1-line block ×4, first 2 shown]
	v_fmac_f16_e32 v76, 0xb9a8, v67
	v_fmac_f16_e32 v75, 0xb9a8, v68
	;; [unrolled: 1-line block ×3, first 2 shown]
	v_fmamk_f16 v68, v86, 0x361f, v85
	v_fmamk_f16 v67, v74, 0x39a8, v73
	v_fma_f16 v74, v89, 2.0, -v74
	v_fmamk_f16 v89, v72, 0x3b64, v71
	v_pk_add_f16 v70, v43, v70 neg_lo:[0,1] neg_hi:[0,1]
	v_fmac_f16_e32 v80, 0x361f, v72
	v_fma_f16 v64, v64, 2.0, -v72
	v_lshrrev_b32_e32 v72, 16, v69
	v_fma_f16 v87, v87, 2.0, -v73
	v_fma_f16 v92, v63, 2.0, -v71
	;; [unrolled: 1-line block ×3, first 2 shown]
	v_fmamk_f16 v93, v82, 0xb61f, v78
	v_fmamk_f16 v94, v66, 0xb9a8, v65
	v_fma_f16 v0, v0, 2.0, -v85
	v_fmac_f16_e32 v68, 0x3b64, v75
	v_fmac_f16_e32 v89, 0xb61f, v84
	v_fmamk_f16 v84, v75, 0x361f, v76
	v_fma_f16 v75, v81, 2.0, -v75
	v_fma_f16 v95, v77, 2.0, -v76
	v_pk_fma_f16 v43, v43, 2.0, v70 op_sel_hi:[1,0,1] neg_lo:[0,0,1] neg_hi:[0,0,1]
	v_pk_fma_f16 v42, v42, 2.0, v69 op_sel_hi:[1,0,1] neg_lo:[0,0,1] neg_hi:[0,0,1]
	v_add_f16_sdwa v91, v69, v70 dst_sel:DWORD dst_unused:UNUSED_PAD src0_sel:DWORD src1_sel:WORD_1
	v_fmac_f16_e32 v67, 0xb9a8, v90
	v_sub_f16_e32 v90, v72, v70
	v_fma_f16 v83, v83, 2.0, -v80
	v_fmac_f16_e32 v93, 0x3b64, v64
	v_fmamk_f16 v64, v64, 0xb61f, v92
	v_fmac_f16_e32 v94, 0x39a8, v74
	v_fmamk_f16 v74, v74, 0xb9a8, v87
	v_fmamk_f16 v96, v44, 0xbb64, v0
	v_pack_b32_f16 v70, v80, v89
	v_fmamk_f16 v80, v75, 0xbb64, v95
	v_pk_add_f16 v63, v42, v43 neg_lo:[0,1] neg_hi:[0,1]
	v_fmac_f16_e32 v84, 0xbb64, v86
	v_fma_f16 v81, v69, 2.0, -v91
	v_fma_f16 v43, v71, 2.0, -v89
	;; [unrolled: 1-line block ×3, first 2 shown]
	v_fmac_f16_e32 v64, 0xbb64, v82
	v_fmac_f16_e32 v74, 0xb9a8, v66
	;; [unrolled: 1-line block ×4, first 2 shown]
	v_fma_f16 v88, v88, 2.0, -v79
	v_fma_f16 v73, v73, 2.0, -v67
	v_pack_b32_f16 v69, v79, v67
	v_fma_f16 v79, v85, 2.0, -v68
	v_pk_fma_f16 v71, v42, 2.0, v63 op_sel_hi:[1,0,1] neg_lo:[0,0,1] neg_hi:[0,0,1]
	v_fma_f16 v42, v76, 2.0, -v84
	v_fma_f16 v82, v65, 2.0, -v94
	v_fma_f16 v85, v78, 2.0, -v93
	v_pack_b32_f16 v78, v83, v43
	v_pack_b32_f16 v75, v81, v72
	v_fma_f16 v43, v92, 2.0, -v64
	v_fma_f16 v44, v87, 2.0, -v74
	;; [unrolled: 1-line block ×4, first 2 shown]
	v_pack_b32_f16 v67, v91, v90
	v_pack_b32_f16 v68, v68, v84
	;; [unrolled: 1-line block ×10, first 2 shown]
	ds_write_b128 v41, v[67:70] offset:48
	ds_write_b128 v41, v[75:78] offset:16
	;; [unrolled: 1-line block ×3, first 2 shown]
	ds_write_b128 v41, v[71:74]
	s_waitcnt lgkmcnt(0)
	s_barrier
	buffer_gl0_inv
	ds_read2st64_b32 v[64:65], v45 offset0:56 offset1:60
	ds_read2st64_b32 v[66:67], v45 offset0:48 offset1:52
	;; [unrolled: 1-line block ×7, first 2 shown]
	ds_read2st64_b32 v[78:79], v45 offset1:4
	s_waitcnt lgkmcnt(0)
	s_barrier
	buffer_gl0_inv
	v_add_co_u32 v39, vcc_lo, v37, s0
	v_add_co_ci_u32_e32 v40, vcc_lo, s1, v38, vcc_lo
	v_mov_b32_e32 v63, 0xc00
	v_add_co_u32 v41, vcc_lo, v39, s0
	v_add_co_ci_u32_e32 v42, vcc_lo, s1, v40, vcc_lo
	v_add_co_u32 v43, vcc_lo, v41, s0
	v_lshrrev_b32_e32 v91, 16, v71
	v_lshrrev_b32_e32 v0, 16, v64
	;; [unrolled: 1-line block ×3, first 2 shown]
	v_mul_f16_sdwa v81, v26, v64 dst_sel:DWORD dst_unused:UNUSED_PAD src0_sel:WORD_1 src1_sel:DWORD
	v_mul_f16_sdwa v82, v27, v65 dst_sel:DWORD dst_unused:UNUSED_PAD src0_sel:WORD_1 src1_sel:DWORD
	v_lshrrev_b32_e32 v83, 16, v67
	v_mul_f16_sdwa v103, v26, v0 dst_sel:DWORD dst_unused:UNUSED_PAD src0_sel:WORD_1 src1_sel:DWORD
	v_mul_f16_sdwa v104, v27, v80 dst_sel:DWORD dst_unused:UNUSED_PAD src0_sel:WORD_1 src1_sel:DWORD
	;; [unrolled: 1-line block ×3, first 2 shown]
	v_lshrrev_b32_e32 v85, 16, v68
	v_lshrrev_b32_e32 v86, 16, v69
	;; [unrolled: 1-line block ×3, first 2 shown]
	v_mul_f16_sdwa v88, v10, v68 dst_sel:DWORD dst_unused:UNUSED_PAD src0_sel:WORD_1 src1_sel:DWORD
	v_mul_f16_sdwa v89, v11, v69 dst_sel:DWORD dst_unused:UNUSED_PAD src0_sel:WORD_1 src1_sel:DWORD
	;; [unrolled: 1-line block ×4, first 2 shown]
	v_lshrrev_b32_e32 v93, 16, v72
	v_lshrrev_b32_e32 v94, 16, v73
	v_mul_f16_sdwa v95, v6, v72 dst_sel:DWORD dst_unused:UNUSED_PAD src0_sel:WORD_1 src1_sel:DWORD
	v_mul_f16_sdwa v96, v7, v73 dst_sel:DWORD dst_unused:UNUSED_PAD src0_sel:WORD_1 src1_sel:DWORD
	v_lshrrev_b32_e32 v97, 16, v70
	v_mul_f16_sdwa v98, v8, v70 dst_sel:DWORD dst_unused:UNUSED_PAD src0_sel:WORD_1 src1_sel:DWORD
	v_lshrrev_b32_e32 v99, 16, v75
	;; [unrolled: 2-line block ×3, first 2 shown]
	v_lshrrev_b32_e32 v102, 16, v77
	v_mul_f16_sdwa v105, v2, v76 dst_sel:DWORD dst_unused:UNUSED_PAD src0_sel:WORD_1 src1_sel:DWORD
	v_mul_f16_sdwa v106, v3, v77 dst_sel:DWORD dst_unused:UNUSED_PAD src0_sel:WORD_1 src1_sel:DWORD
	v_lshrrev_b32_e32 v107, 16, v74
	v_fmac_f16_e32 v103, v26, v64
	v_fmac_f16_e32 v104, v27, v65
	v_mul_f16_sdwa v64, v4, v74 dst_sel:DWORD dst_unused:UNUSED_PAD src0_sel:WORD_1 src1_sel:DWORD
	v_lshrrev_b32_e32 v65, 16, v79
	v_fma_f16 v0, v26, v0, -v81
	v_mul_f16_sdwa v26, v1, v79 dst_sel:DWORD dst_unused:UNUSED_PAD src0_sel:WORD_1 src1_sel:DWORD
	v_fma_f16 v27, v27, v80, -v82
	v_fma_f16 v81, v25, v83, -v84
	v_mul_f16_sdwa v82, v25, v83 dst_sel:DWORD dst_unused:UNUSED_PAD src0_sel:WORD_1 src1_sel:DWORD
	v_fma_f16 v83, v10, v85, -v88
	v_mul_f16_sdwa v84, v10, v85 dst_sel:DWORD dst_unused:UNUSED_PAD src0_sel:WORD_1 src1_sel:DWORD
	v_fma_f16 v85, v11, v86, -v89
	v_mul_f16_sdwa v86, v11, v86 dst_sel:DWORD dst_unused:UNUSED_PAD src0_sel:WORD_1 src1_sel:DWORD
	v_fma_f16 v88, v12, v87, -v90
	v_mul_f16_sdwa v87, v12, v87 dst_sel:DWORD dst_unused:UNUSED_PAD src0_sel:WORD_1 src1_sel:DWORD
	v_fma_f16 v89, v9, v91, -v92
	v_mul_f16_sdwa v90, v9, v91 dst_sel:DWORD dst_unused:UNUSED_PAD src0_sel:WORD_1 src1_sel:DWORD
	v_fma_f16 v91, v6, v93, -v95
	v_mul_f16_sdwa v92, v6, v93 dst_sel:DWORD dst_unused:UNUSED_PAD src0_sel:WORD_1 src1_sel:DWORD
	v_fma_f16 v93, v7, v94, -v96
	v_mul_f16_sdwa v94, v7, v94 dst_sel:DWORD dst_unused:UNUSED_PAD src0_sel:WORD_1 src1_sel:DWORD
	v_fma_f16 v95, v8, v97, -v98
	v_mul_f16_sdwa v96, v8, v97 dst_sel:DWORD dst_unused:UNUSED_PAD src0_sel:WORD_1 src1_sel:DWORD
	v_fma_f16 v97, v5, v99, -v100
	v_mul_f16_sdwa v98, v5, v99 dst_sel:DWORD dst_unused:UNUSED_PAD src0_sel:WORD_1 src1_sel:DWORD
	v_fma_f16 v99, v2, v101, -v105
	v_mul_f16_sdwa v100, v2, v101 dst_sel:DWORD dst_unused:UNUSED_PAD src0_sel:WORD_1 src1_sel:DWORD
	v_fma_f16 v101, v3, v102, -v106
	v_mul_f16_sdwa v102, v3, v102 dst_sel:DWORD dst_unused:UNUSED_PAD src0_sel:WORD_1 src1_sel:DWORD
	v_fma_f16 v64, v4, v107, -v64
	v_mul_f16_sdwa v105, v4, v107 dst_sel:DWORD dst_unused:UNUSED_PAD src0_sel:WORD_1 src1_sel:DWORD
	v_fma_f16 v26, v1, v65, -v26
	v_mul_f16_sdwa v65, v1, v65 dst_sel:DWORD dst_unused:UNUSED_PAD src0_sel:WORD_1 src1_sel:DWORD
	v_lshrrev_b32_e32 v80, 16, v78
	v_fmac_f16_e32 v82, v25, v67
	v_fmac_f16_e32 v84, v10, v68
	;; [unrolled: 1-line block ×13, first 2 shown]
	v_sub_f16_e32 v2, v64, v88
	v_sub_f16_e32 v1, v80, v95
	;; [unrolled: 1-line block ×11, first 2 shown]
	v_fma_f16 v11, v64, 2.0, -v2
	v_sub_f16_e32 v12, v100, v84
	v_sub_f16_e32 v64, v65, v90
	;; [unrolled: 1-line block ×5, first 2 shown]
	v_fma_f16 v25, v91, 2.0, -v0
	v_fma_f16 v27, v99, 2.0, -v3
	;; [unrolled: 1-line block ×9, first 2 shown]
	v_add_f16_e32 v2, v8, v2
	v_sub_f16_e32 v9, v3, v9
	v_add_f16_e32 v0, v12, v0
	v_fma_f16 v75, v105, 2.0, -v10
	v_sub_f16_e32 v10, v1, v10
	v_fma_f16 v76, v100, 2.0, -v12
	v_fma_f16 v77, v94, 2.0, -v66
	v_add_f16_e32 v5, v64, v5
	v_sub_f16_e32 v66, v6, v66
	v_add_f16_e32 v7, v69, v7
	v_fma_f16 v78, v98, 2.0, -v67
	v_sub_f16_e32 v67, v4, v67
	v_fma_f16 v79, v102, 2.0, -v69
	v_fma_f16 v65, v65, 2.0, -v64
	v_sub_f16_e32 v11, v72, v11
	v_sub_f16_e32 v25, v27, v25
	;; [unrolled: 1-line block ×4, first 2 shown]
	v_fma_f16 v3, v3, 2.0, -v9
	v_fmamk_f16 v80, v0, 0x39a8, v2
	v_fmamk_f16 v81, v9, 0x39a8, v10
	v_fma_f16 v12, v12, 2.0, -v0
	v_fma_f16 v6, v6, 2.0, -v66
	v_fmamk_f16 v82, v7, 0x39a8, v5
	v_fmamk_f16 v83, v66, 0x39a8, v67
	v_fma_f16 v69, v69, 2.0, -v7
	v_fma_f16 v8, v8, 2.0, -v2
	;; [unrolled: 1-line block ×5, first 2 shown]
	v_sub_f16_e32 v75, v73, v75
	v_sub_f16_e32 v77, v79, v77
	;; [unrolled: 1-line block ×4, first 2 shown]
	v_fma_f16 v27, v27, 2.0, -v25
	v_fma_f16 v71, v71, 2.0, -v70
	v_fmac_f16_e32 v80, 0x39a8, v9
	v_fmac_f16_e32 v81, 0xb9a8, v0
	;; [unrolled: 1-line block ×4, first 2 shown]
	v_fmamk_f16 v0, v12, 0xb9a8, v8
	v_fmamk_f16 v7, v3, 0xb9a8, v1
	;; [unrolled: 1-line block ×4, first 2 shown]
	v_fma_f16 v79, v79, 2.0, -v77
	v_add_f16_e32 v25, v75, v25
	v_sub_f16_e32 v77, v68, v77
	v_add_f16_e32 v70, v78, v70
	v_fma_f16 v76, v76, 2.0, -v74
	v_sub_f16_e32 v74, v11, v74
	v_fma_f16 v26, v26, 2.0, -v68
	v_fma_f16 v72, v72, 2.0, -v11
	;; [unrolled: 1-line block ×4, first 2 shown]
	v_fmac_f16_e32 v0, 0x39a8, v3
	v_fmac_f16_e32 v7, 0xb9a8, v12
	;; [unrolled: 1-line block ×4, first 2 shown]
	v_fma_f16 v3, v68, 2.0, -v77
	v_fmamk_f16 v6, v70, 0x39a8, v25
	v_fma_f16 v68, v78, 2.0, -v70
	v_fmamk_f16 v78, v83, 0x3b64, v81
	v_fma_f16 v5, v5, 2.0, -v82
	v_fma_f16 v11, v11, 2.0, -v74
	;; [unrolled: 1-line block ×3, first 2 shown]
	v_sub_f16_e32 v71, v26, v71
	v_sub_f16_e32 v27, v72, v27
	v_fmamk_f16 v12, v77, 0x39a8, v74
	v_fma_f16 v67, v67, 2.0, -v83
	v_fmamk_f16 v69, v82, 0x3b64, v80
	v_fma_f16 v75, v75, 2.0, -v25
	v_fma_f16 v10, v10, 2.0, -v81
	v_sub_f16_e32 v79, v65, v79
	v_sub_f16_e32 v76, v73, v76
	v_fmac_f16_e32 v6, 0x39a8, v77
	v_fmac_f16_e32 v78, 0xb61f, v82
	v_fmamk_f16 v77, v3, 0xb9a8, v11
	v_fmamk_f16 v82, v5, 0xb61f, v2
	v_fma_f16 v4, v4, 2.0, -v66
	v_fma_f16 v64, v64, 2.0, -v9
	;; [unrolled: 1-line block ×6, first 2 shown]
	v_fmac_f16_e32 v12, 0xb9a8, v70
	v_fmac_f16_e32 v69, 0x361f, v83
	v_fmamk_f16 v70, v68, 0xb9a8, v75
	v_fmamk_f16 v83, v67, 0xb61f, v10
	v_fma_f16 v65, v65, 2.0, -v79
	v_sub_f16_e32 v79, v27, v79
	v_fma_f16 v73, v73, 2.0, -v76
	v_fmamk_f16 v84, v9, 0x361f, v0
	v_fmamk_f16 v85, v66, 0x361f, v7
	v_add_f16_e32 v71, v76, v71
	v_fmac_f16_e32 v77, 0xb9a8, v68
	v_fmac_f16_e32 v82, 0x3b64, v67
	v_fmamk_f16 v67, v64, 0xbb64, v8
	v_fmamk_f16 v68, v4, 0xbb64, v1
	v_sub_f16_e32 v26, v72, v26
	v_fmac_f16_e32 v70, 0x39a8, v3
	v_fmac_f16_e32 v83, 0xbb64, v5
	v_fma_f16 v5, v27, 2.0, -v79
	v_fma_f16 v25, v25, 2.0, -v6
	;; [unrolled: 1-line block ×3, first 2 shown]
	v_sub_f16_e32 v65, v73, v65
	v_fmac_f16_e32 v84, 0x3b64, v66
	v_fmac_f16_e32 v85, 0xbb64, v9
	v_fma_f16 v3, v76, 2.0, -v71
	v_pack_b32_f16 v6, v6, v12
	v_fma_f16 v12, v80, 2.0, -v69
	v_fma_f16 v66, v81, 2.0, -v78
	v_pack_b32_f16 v69, v69, v78
	v_fmac_f16_e32 v67, 0x361f, v4
	v_fmac_f16_e32 v68, 0xb61f, v64
	v_pack_b32_f16 v9, v71, v79
	v_fma_f16 v71, v72, 2.0, -v26
	v_pack_b32_f16 v4, v25, v27
	v_pack_b32_f16 v25, v65, v26
	v_fma_f16 v26, v75, 2.0, -v70
	v_fma_f16 v11, v11, 2.0, -v77
	;; [unrolled: 1-line block ×6, first 2 shown]
	v_pack_b32_f16 v3, v3, v5
	v_pack_b32_f16 v5, v12, v66
	v_fma_f16 v12, v73, 2.0, -v65
	ds_write2_b32 v62, v6, v69 offset0:224 offset1:240
	v_fma_f16 v6, v8, 2.0, -v67
	v_fma_f16 v1, v1, 2.0, -v68
	v_pack_b32_f16 v27, v70, v77
	v_pack_b32_f16 v64, v82, v83
	;; [unrolled: 1-line block ×6, first 2 shown]
	ds_write2_b32 v62, v4, v5 offset0:96 offset1:112
	v_pack_b32_f16 v4, v67, v68
	v_pack_b32_f16 v8, v12, v71
	;; [unrolled: 1-line block ×3, first 2 shown]
	ds_write2_b32 v62, v27, v64 offset0:160 offset1:176
	ds_write2_b32 v62, v9, v65 offset0:192 offset1:208
	;; [unrolled: 1-line block ×5, first 2 shown]
	ds_write2_b32 v62, v8, v1 offset1:16
	s_waitcnt lgkmcnt(0)
	s_barrier
	buffer_gl0_inv
	ds_read2st64_b32 v[6:7], v45 offset0:56 offset1:60
	ds_read2st64_b32 v[8:9], v45 offset0:8 offset1:12
	;; [unrolled: 1-line block ×6, first 2 shown]
	ds_read2st64_b32 v[68:69], v45 offset1:4
	ds_read2st64_b32 v[70:71], v45 offset0:16 offset1:20
	v_add_co_ci_u32_e32 v44, vcc_lo, s1, v42, vcc_lo
	v_add_co_u32 v0, vcc_lo, v43, s0
	v_add_co_ci_u32_e32 v1, vcc_lo, s1, v44, vcc_lo
	v_add_co_u32 v2, vcc_lo, v0, s0
	;; [unrolled: 2-line block ×3, first 2 shown]
	s_waitcnt lgkmcnt(7)
	v_lshrrev_b32_e32 v12, 16, v6
	v_lshrrev_b32_e32 v27, 16, v7
	s_waitcnt lgkmcnt(6)
	v_lshrrev_b32_e32 v62, 16, v8
	s_waitcnt lgkmcnt(5)
	v_lshrrev_b32_e32 v72, 16, v10
	v_lshrrev_b32_e32 v73, 16, v11
	s_waitcnt lgkmcnt(4)
	v_lshrrev_b32_e32 v74, 16, v26
	v_mul_f16_sdwa v75, v28, v26 dst_sel:DWORD dst_unused:UNUSED_PAD src0_sel:WORD_1 src1_sel:DWORD
	v_mul_f16_sdwa v76, v29, v6 dst_sel:DWORD dst_unused:UNUSED_PAD src0_sel:WORD_1 src1_sel:DWORD
	;; [unrolled: 1-line block ×3, first 2 shown]
	v_lshrrev_b32_e32 v78, 16, v25
	s_waitcnt lgkmcnt(3)
	v_lshrrev_b32_e32 v79, 16, v65
	v_mul_f16_sdwa v80, v22, v10 dst_sel:DWORD dst_unused:UNUSED_PAD src0_sel:WORD_1 src1_sel:DWORD
	v_mul_f16_sdwa v81, v23, v11 dst_sel:DWORD dst_unused:UNUSED_PAD src0_sel:WORD_1 src1_sel:DWORD
	;; [unrolled: 1-line block ×4, first 2 shown]
	s_waitcnt lgkmcnt(2)
	v_lshrrev_b32_e32 v84, 16, v66
	v_lshrrev_b32_e32 v85, 16, v67
	v_lshrrev_b32_e32 v86, 16, v9
	v_lshrrev_b32_e32 v87, 16, v64
	v_mul_f16_sdwa v88, v18, v66 dst_sel:DWORD dst_unused:UNUSED_PAD src0_sel:WORD_1 src1_sel:DWORD
	v_mul_f16_sdwa v89, v19, v67 dst_sel:DWORD dst_unused:UNUSED_PAD src0_sel:WORD_1 src1_sel:DWORD
	s_waitcnt lgkmcnt(0)
	v_lshrrev_b32_e32 v90, 16, v71
	v_mul_f16_sdwa v91, v17, v71 dst_sel:DWORD dst_unused:UNUSED_PAD src0_sel:WORD_1 src1_sel:DWORD
	v_mul_f16_sdwa v92, v20, v64 dst_sel:DWORD dst_unused:UNUSED_PAD src0_sel:WORD_1 src1_sel:DWORD
	v_lshrrev_b32_e32 v93, 16, v70
	v_mul_f16_sdwa v94, v14, v8 dst_sel:DWORD dst_unused:UNUSED_PAD src0_sel:WORD_1 src1_sel:DWORD
	v_mul_f16_sdwa v95, v15, v9 dst_sel:DWORD dst_unused:UNUSED_PAD src0_sel:WORD_1 src1_sel:DWORD
	;; [unrolled: 3-line block ×3, first 2 shown]
	v_mul_f16_sdwa v100, v29, v12 dst_sel:DWORD dst_unused:UNUSED_PAD src0_sel:WORD_1 src1_sel:DWORD
	v_mul_f16_sdwa v101, v30, v27 dst_sel:DWORD dst_unused:UNUSED_PAD src0_sel:WORD_1 src1_sel:DWORD
	v_fma_f16 v75, v28, v74, -v75
	v_mul_f16_sdwa v74, v28, v74 dst_sel:DWORD dst_unused:UNUSED_PAD src0_sel:WORD_1 src1_sel:DWORD
	v_fma_f16 v12, v29, v12, -v76
	;; [unrolled: 2-line block ×3, first 2 shown]
	v_mul_f16_sdwa v77, v23, v73 dst_sel:DWORD dst_unused:UNUSED_PAD src0_sel:WORD_1 src1_sel:DWORD
	v_mul_f16_sdwa v102, v24, v78 dst_sel:DWORD dst_unused:UNUSED_PAD src0_sel:WORD_1 src1_sel:DWORD
	v_fma_f16 v72, v22, v72, -v80
	v_fma_f16 v80, v21, v79, -v82
	v_mul_f16_sdwa v79, v21, v79 dst_sel:DWORD dst_unused:UNUSED_PAD src0_sel:WORD_1 src1_sel:DWORD
	v_fma_f16 v73, v23, v73, -v81
	v_fma_f16 v78, v24, v78, -v83
	v_mul_f16_sdwa v81, v18, v84 dst_sel:DWORD dst_unused:UNUSED_PAD src0_sel:WORD_1 src1_sel:DWORD
	v_mul_f16_sdwa v82, v19, v85 dst_sel:DWORD dst_unused:UNUSED_PAD src0_sel:WORD_1 src1_sel:DWORD
	v_fma_f16 v83, v18, v84, -v88
	v_fma_f16 v84, v19, v85, -v89
	;; [unrolled: 1-line block ×3, first 2 shown]
	v_mul_f16_sdwa v87, v20, v87 dst_sel:DWORD dst_unused:UNUSED_PAD src0_sel:WORD_1 src1_sel:DWORD
	v_fma_f16 v88, v17, v90, -v91
	v_mul_f16_sdwa v89, v17, v90 dst_sel:DWORD dst_unused:UNUSED_PAD src0_sel:WORD_1 src1_sel:DWORD
	v_fma_f16 v90, v14, v62, -v94
	;; [unrolled: 2-line block ×4, first 2 shown]
	v_mul_f16_sdwa v93, v16, v93 dst_sel:DWORD dst_unused:UNUSED_PAD src0_sel:WORD_1 src1_sel:DWORD
	v_mul_f16_sdwa v95, v13, v96 dst_sel:DWORD dst_unused:UNUSED_PAD src0_sel:WORD_1 src1_sel:DWORD
	v_lshrrev_b32_e32 v99, 16, v68
	v_fma_f16 v94, v13, v96, -v97
	v_fmac_f16_e32 v100, v29, v6
	v_fmac_f16_e32 v101, v30, v7
	;; [unrolled: 1-line block ×15, first 2 shown]
	v_sub_f16_e32 v6, v99, v85
	v_sub_f16_e32 v7, v92, v78
	;; [unrolled: 1-line block ×16, first 2 shown]
	v_fma_f16 v15, v99, 2.0, -v6
	v_fma_f16 v17, v92, 2.0, -v7
	;; [unrolled: 1-line block ×14, first 2 shown]
	v_add_f16_e32 v7, v14, v7
	v_sub_f16_e32 v16, v6, v16
	v_add_f16_e32 v9, v18, v9
	v_sub_f16_e32 v20, v8, v20
	;; [unrolled: 2-line block ×4, first 2 shown]
	v_fma_f16 v23, v94, 2.0, -v10
	v_fma_f16 v27, v91, 2.0, -v12
	v_sub_f16_e32 v17, v15, v17
	v_sub_f16_e32 v21, v19, v21
	;; [unrolled: 1-line block ×3, first 2 shown]
	v_fma_f16 v14, v14, 2.0, -v7
	v_fma_f16 v6, v6, 2.0, -v16
	v_sub_f16_e32 v65, v62, v65
	v_fma_f16 v18, v18, 2.0, -v9
	v_fma_f16 v8, v8, 2.0, -v20
	v_sub_f16_e32 v67, v66, v67
	v_fma_f16 v22, v22, 2.0, -v11
	v_fma_f16 v10, v10, 2.0, -v24
	v_sub_f16_e32 v69, v68, v69
	v_fmamk_f16 v70, v9, 0x39a8, v7
	v_fma_f16 v26, v26, 2.0, -v13
	v_fma_f16 v12, v12, 2.0, -v28
	v_fmamk_f16 v71, v20, 0x39a8, v16
	v_fmamk_f16 v72, v13, 0x39a8, v11
	;; [unrolled: 1-line block ×3, first 2 shown]
	v_sub_f16_e32 v25, v23, v25
	v_sub_f16_e32 v29, v27, v29
	v_fma_f16 v15, v15, 2.0, -v17
	v_fma_f16 v19, v19, 2.0, -v21
	v_fmac_f16_e32 v70, 0x39a8, v20
	v_fma_f16 v20, v30, 2.0, -v64
	v_fma_f16 v30, v62, 2.0, -v65
	;; [unrolled: 1-line block ×4, first 2 shown]
	v_fmac_f16_e32 v71, 0xb9a8, v9
	v_fmamk_f16 v9, v18, 0xb9a8, v14
	v_fmac_f16_e32 v72, 0x39a8, v28
	v_fmamk_f16 v28, v8, 0xb9a8, v6
	v_add_f16_e32 v21, v64, v21
	v_fmac_f16_e32 v73, 0xb9a8, v13
	v_fmamk_f16 v13, v26, 0xb9a8, v22
	v_fmamk_f16 v68, v12, 0xb9a8, v10
	v_fma_f16 v27, v27, 2.0, -v29
	v_sub_f16_e32 v65, v17, v65
	v_add_f16_e32 v29, v67, v29
	v_sub_f16_e32 v69, v25, v69
	v_fma_f16 v23, v23, 2.0, -v25
	v_sub_f16_e32 v19, v15, v19
	v_fmac_f16_e32 v9, 0x39a8, v8
	v_fmac_f16_e32 v28, 0xb9a8, v18
	v_fma_f16 v8, v64, 2.0, -v21
	v_fmac_f16_e32 v13, 0x39a8, v12
	v_fmac_f16_e32 v68, 0xb9a8, v26
	v_fma_f16 v24, v24, 2.0, -v73
	v_fmamk_f16 v64, v72, 0x3b64, v70
	v_fma_f16 v16, v16, 2.0, -v71
	v_sub_f16_e32 v66, v62, v66
	v_fma_f16 v17, v17, 2.0, -v65
	v_fma_f16 v7, v7, 2.0, -v70
	;; [unrolled: 1-line block ×4, first 2 shown]
	v_fmamk_f16 v25, v29, 0x39a8, v21
	v_fma_f16 v11, v11, 2.0, -v72
	v_fmamk_f16 v26, v69, 0x39a8, v65
	v_fmamk_f16 v67, v73, 0x3b64, v71
	v_sub_f16_e32 v30, v20, v30
	v_sub_f16_e32 v27, v23, v27
	v_fmac_f16_e32 v64, 0x361f, v73
	v_fmamk_f16 v73, v24, 0xb61f, v16
	v_fma_f16 v14, v14, 2.0, -v9
	v_fma_f16 v62, v62, 2.0, -v66
	;; [unrolled: 1-line block ×3, first 2 shown]
	v_fmamk_f16 v75, v68, 0x361f, v28
	v_fma_f16 v22, v22, 2.0, -v13
	v_sub_f16_e32 v66, v19, v66
	v_fma_f16 v6, v6, 2.0, -v28
	v_fmac_f16_e32 v25, 0x39a8, v69
	v_fmac_f16_e32 v26, 0xb9a8, v29
	v_fmamk_f16 v29, v12, 0xb9a8, v8
	v_fmamk_f16 v69, v18, 0xb9a8, v17
	v_fmac_f16_e32 v67, 0xb61f, v72
	v_fmamk_f16 v72, v11, 0xb61f, v7
	v_fmamk_f16 v74, v13, 0x361f, v9
	v_fma_f16 v20, v20, 2.0, -v30
	v_fma_f16 v15, v15, 2.0, -v19
	;; [unrolled: 1-line block ×3, first 2 shown]
	v_fmac_f16_e32 v73, 0xbb64, v11
	v_fmac_f16_e32 v75, 0xbb64, v13
	v_fmamk_f16 v11, v22, 0xbb64, v14
	v_fma_f16 v13, v19, 2.0, -v66
	v_fmamk_f16 v19, v10, 0xbb64, v6
	v_add_f16_e32 v27, v30, v27
	v_fmac_f16_e32 v29, 0x39a8, v18
	v_fmac_f16_e32 v69, 0xb9a8, v12
	;; [unrolled: 1-line block ×4, first 2 shown]
	v_fma_f16 v21, v21, 2.0, -v25
	v_fma_f16 v24, v65, 2.0, -v26
	v_pack_b32_f16 v25, v25, v26
	v_sub_f16_e32 v26, v20, v62
	v_sub_f16_e32 v23, v15, v23
	v_fmac_f16_e32 v11, 0x361f, v10
	v_fmac_f16_e32 v19, 0xb61f, v22
	v_fma_f16 v12, v30, 2.0, -v27
	v_pack_b32_f16 v18, v27, v66
	v_fma_f16 v27, v70, 2.0, -v64
	v_fma_f16 v30, v71, 2.0, -v67
	;; [unrolled: 1-line block ×12, first 2 shown]
	v_pack_b32_f16 v62, v64, v67
	v_pack_b32_f16 v12, v12, v13
	;; [unrolled: 1-line block ×14, first 2 shown]
	ds_write2st64_b32 v45, v25, v62 offset0:56 offset1:60
	ds_write2st64_b32 v45, v13, v21 offset0:24 offset1:28
	;; [unrolled: 1-line block ×7, first 2 shown]
	ds_write2st64_b32 v45, v10, v6 offset1:4
	s_waitcnt lgkmcnt(0)
	s_barrier
	buffer_gl0_inv
	ds_read2st64_b32 v[6:7], v45 offset1:4
	ds_read2st64_b32 v[8:9], v45 offset0:8 offset1:12
	ds_read2st64_b32 v[12:13], v45 offset0:16 offset1:20
	;; [unrolled: 1-line block ×7, first 2 shown]
	v_add_co_ci_u32_e32 v5, vcc_lo, s1, v3, vcc_lo
	v_add_co_u32 v10, vcc_lo, v4, s0
	v_add_co_ci_u32_e32 v11, vcc_lo, s1, v5, vcc_lo
	v_add_co_u32 v14, vcc_lo, v10, s0
	;; [unrolled: 2-line block ×3, first 2 shown]
	s_waitcnt lgkmcnt(7)
	v_lshrrev_b32_e32 v28, 16, v6
	v_lshrrev_b32_e32 v29, 16, v7
	v_mul_f16_sdwa v30, v46, v6 dst_sel:DWORD dst_unused:UNUSED_PAD src0_sel:WORD_1 src1_sel:DWORD
	v_mul_f16_sdwa v45, v47, v7 dst_sel:DWORD dst_unused:UNUSED_PAD src0_sel:WORD_1 src1_sel:DWORD
	s_waitcnt lgkmcnt(6)
	v_lshrrev_b32_e32 v62, 16, v8
	v_lshrrev_b32_e32 v65, 16, v9
	v_mul_f16_sdwa v64, v48, v8 dst_sel:DWORD dst_unused:UNUSED_PAD src0_sel:WORD_1 src1_sel:DWORD
	v_mul_f16_sdwa v66, v49, v9 dst_sel:DWORD dst_unused:UNUSED_PAD src0_sel:WORD_1 src1_sel:DWORD
	s_waitcnt lgkmcnt(5)
	v_lshrrev_b32_e32 v67, 16, v12
	v_mul_f16_sdwa v68, v50, v12 dst_sel:DWORD dst_unused:UNUSED_PAD src0_sel:WORD_1 src1_sel:DWORD
	v_lshrrev_b32_e32 v69, 16, v13
	v_mul_f16_sdwa v70, v51, v13 dst_sel:DWORD dst_unused:UNUSED_PAD src0_sel:WORD_1 src1_sel:DWORD
	s_waitcnt lgkmcnt(4)
	v_lshrrev_b32_e32 v71, 16, v16
	v_mul_f16_sdwa v72, v52, v16 dst_sel:DWORD dst_unused:UNUSED_PAD src0_sel:WORD_1 src1_sel:DWORD
	v_lshrrev_b32_e32 v73, 16, v17
	;; [unrolled: 5-line block ×5, first 2 shown]
	v_mul_f16_sdwa v86, v60, v25 dst_sel:DWORD dst_unused:UNUSED_PAD src0_sel:WORD_1 src1_sel:DWORD
	s_waitcnt lgkmcnt(0)
	v_lshrrev_b32_e32 v87, 16, v26
	v_mul_f16_sdwa v91, v46, v28 dst_sel:DWORD dst_unused:UNUSED_PAD src0_sel:WORD_1 src1_sel:DWORD
	v_fma_f16 v28, v46, v28, -v30
	v_mul_f16_sdwa v30, v47, v29 dst_sel:DWORD dst_unused:UNUSED_PAD src0_sel:WORD_1 src1_sel:DWORD
	v_fma_f16 v29, v47, v29, -v45
	v_mul_f16_sdwa v45, v48, v62 dst_sel:DWORD dst_unused:UNUSED_PAD src0_sel:WORD_1 src1_sel:DWORD
	v_mul_f16_sdwa v92, v49, v65 dst_sel:DWORD dst_unused:UNUSED_PAD src0_sel:WORD_1 src1_sel:DWORD
	v_fma_f16 v62, v48, v62, -v64
	v_fma_f16 v64, v49, v65, -v66
	v_mul_f16_sdwa v65, v50, v67 dst_sel:DWORD dst_unused:UNUSED_PAD src0_sel:WORD_1 src1_sel:DWORD
	v_mul_f16_sdwa v66, v51, v69 dst_sel:DWORD dst_unused:UNUSED_PAD src0_sel:WORD_1 src1_sel:DWORD
	v_fma_f16 v67, v50, v67, -v68
	v_fma_f16 v68, v51, v69, -v70
	v_mul_f16_sdwa v69, v52, v71 dst_sel:DWORD dst_unused:UNUSED_PAD src0_sel:WORD_1 src1_sel:DWORD
	v_fma_f16 v70, v52, v71, -v72
	v_mul_f16_sdwa v71, v53, v73 dst_sel:DWORD dst_unused:UNUSED_PAD src0_sel:WORD_1 src1_sel:DWORD
	v_fma_f16 v72, v53, v73, -v74
	v_mul_f16_sdwa v73, v54, v75 dst_sel:DWORD dst_unused:UNUSED_PAD src0_sel:WORD_1 src1_sel:DWORD
	v_mul_f16_sdwa v74, v56, v77 dst_sel:DWORD dst_unused:UNUSED_PAD src0_sel:WORD_1 src1_sel:DWORD
	v_fma_f16 v75, v54, v75, -v76
	v_fma_f16 v76, v56, v77, -v78
	v_mul_f16_sdwa v77, v57, v79 dst_sel:DWORD dst_unused:UNUSED_PAD src0_sel:WORD_1 src1_sel:DWORD
	v_fma_f16 v78, v57, v79, -v80
	v_mul_f16_sdwa v79, v58, v81 dst_sel:DWORD dst_unused:UNUSED_PAD src0_sel:WORD_1 src1_sel:DWORD
	;; [unrolled: 2-line block ×5, first 2 shown]
	v_fmac_f16_e32 v91, v46, v6
	v_fmac_f16_e32 v30, v47, v7
	;; [unrolled: 1-line block ×5, first 2 shown]
	v_mul_f16_sdwa v88, v61, v26 dst_sel:DWORD dst_unused:UNUSED_PAD src0_sel:WORD_1 src1_sel:DWORD
	v_lshrrev_b32_e32 v89, 16, v27
	v_fmac_f16_e32 v66, v51, v13
	v_fmac_f16_e32 v69, v52, v16
	v_fmac_f16_e32 v71, v53, v17
	v_fmac_f16_e32 v73, v54, v20
	v_fmac_f16_e32 v74, v56, v21
	v_fmac_f16_e32 v77, v57, v22
	v_mul_f16_sdwa v6, v28, v63 dst_sel:WORD_1 dst_unused:UNUSED_PAD src0_sel:DWORD src1_sel:DWORD
	v_fmac_f16_e32 v85, v61, v26
	v_mul_f16_e32 v26, 0xc00, v91
	v_mul_f16_sdwa v7, v29, v63 dst_sel:WORD_1 dst_unused:UNUSED_PAD src0_sel:DWORD src1_sel:DWORD
	v_mul_f16_e32 v28, 0xc00, v30
	v_mul_f16_sdwa v8, v62, v63 dst_sel:WORD_1 dst_unused:UNUSED_PAD src0_sel:DWORD src1_sel:DWORD
	;; [unrolled: 2-line block ×4, first 2 shown]
	v_mul_f16_e32 v45, 0xc00, v65
	v_mul_f16_sdwa v90, v55, v27 dst_sel:DWORD dst_unused:UNUSED_PAD src0_sel:WORD_1 src1_sel:DWORD
	v_fma_f16 v86, v61, v87, -v88
	v_mul_f16_sdwa v87, v55, v89 dst_sel:DWORD dst_unused:UNUSED_PAD src0_sel:WORD_1 src1_sel:DWORD
	v_mul_f16_sdwa v13, v68, v63 dst_sel:WORD_1 dst_unused:UNUSED_PAD src0_sel:DWORD src1_sel:DWORD
	v_mul_f16_sdwa v16, v70, v63 dst_sel:WORD_1 dst_unused:UNUSED_PAD src0_sel:DWORD src1_sel:DWORD
	;; [unrolled: 1-line block ×6, first 2 shown]
	v_mul_f16_e32 v46, 0xc00, v66
	v_mul_f16_e32 v47, 0xc00, v69
	;; [unrolled: 1-line block ×6, first 2 shown]
	v_or_b32_sdwa v6, v6, v26 dst_sel:DWORD dst_unused:UNUSED_PAD src0_sel:DWORD src1_sel:WORD_0
	v_or_b32_sdwa v7, v7, v28 dst_sel:DWORD dst_unused:UNUSED_PAD src0_sel:DWORD src1_sel:WORD_0
	v_add_co_ci_u32_e32 v19, vcc_lo, s1, v15, vcc_lo
	v_or_b32_sdwa v8, v8, v29 dst_sel:DWORD dst_unused:UNUSED_PAD src0_sel:DWORD src1_sel:WORD_0
	v_fmac_f16_e32 v79, v58, v23
	v_or_b32_sdwa v9, v9, v30 dst_sel:DWORD dst_unused:UNUSED_PAD src0_sel:DWORD src1_sel:WORD_0
	v_fmac_f16_e32 v81, v59, v24
	v_or_b32_sdwa v12, v12, v45 dst_sel:DWORD dst_unused:UNUSED_PAD src0_sel:DWORD src1_sel:WORD_0
	v_fmac_f16_e32 v83, v60, v25
	v_or_b32_sdwa v13, v13, v46 dst_sel:DWORD dst_unused:UNUSED_PAD src0_sel:DWORD src1_sel:WORD_0
	v_or_b32_sdwa v16, v16, v47 dst_sel:DWORD dst_unused:UNUSED_PAD src0_sel:DWORD src1_sel:WORD_0
	;; [unrolled: 1-line block ×6, first 2 shown]
	global_store_dword v[31:32], v6, off
	global_store_dword v[33:34], v7, off
	;; [unrolled: 1-line block ×11, first 2 shown]
	v_mul_f16_e32 v2, 0xc00, v85
	v_mul_f16_sdwa v3, v86, v63 dst_sel:WORD_1 dst_unused:UNUSED_PAD src0_sel:DWORD src1_sel:DWORD
	v_fmac_f16_e32 v87, v55, v27
	v_fma_f16 v4, v55, v89, -v90
	v_add_co_u32 v0, vcc_lo, v18, s0
	v_add_co_ci_u32_e32 v1, vcc_lo, s1, v19, vcc_lo
	v_mul_f16_sdwa v23, v80, v63 dst_sel:WORD_1 dst_unused:UNUSED_PAD src0_sel:DWORD src1_sel:DWORD
	v_mul_f16_e32 v52, 0xc00, v79
	v_mul_f16_sdwa v24, v82, v63 dst_sel:WORD_1 dst_unused:UNUSED_PAD src0_sel:DWORD src1_sel:DWORD
	v_mul_f16_e32 v53, 0xc00, v81
	;; [unrolled: 2-line block ×3, first 2 shown]
	v_or_b32_sdwa v6, v3, v2 dst_sel:DWORD dst_unused:UNUSED_PAD src0_sel:DWORD src1_sel:WORD_0
	v_mul_f16_e32 v5, 0xc00, v87
	v_mul_f16_sdwa v4, v4, v63 dst_sel:WORD_1 dst_unused:UNUSED_PAD src0_sel:DWORD src1_sel:DWORD
	v_add_co_u32 v2, vcc_lo, v0, s0
	v_add_co_ci_u32_e32 v3, vcc_lo, s1, v1, vcc_lo
	v_or_b32_sdwa v23, v23, v52 dst_sel:DWORD dst_unused:UNUSED_PAD src0_sel:DWORD src1_sel:WORD_0
	v_or_b32_sdwa v24, v24, v53 dst_sel:DWORD dst_unused:UNUSED_PAD src0_sel:DWORD src1_sel:WORD_0
	;; [unrolled: 1-line block ×4, first 2 shown]
	v_add_co_u32 v4, vcc_lo, v2, s0
	v_add_co_ci_u32_e32 v5, vcc_lo, s1, v3, vcc_lo
	global_store_dword v[14:15], v23, off
	global_store_dword v[18:19], v24, off
	;; [unrolled: 1-line block ×5, first 2 shown]
.LBB0_2:
	s_endpgm
	.section	.rodata,"a",@progbits
	.p2align	6, 0x0
	.amdhsa_kernel bluestein_single_fwd_len4096_dim1_half_op_CI_CI
		.amdhsa_group_segment_fixed_size 16384
		.amdhsa_private_segment_fixed_size 0
		.amdhsa_kernarg_size 104
		.amdhsa_user_sgpr_count 6
		.amdhsa_user_sgpr_private_segment_buffer 1
		.amdhsa_user_sgpr_dispatch_ptr 0
		.amdhsa_user_sgpr_queue_ptr 0
		.amdhsa_user_sgpr_kernarg_segment_ptr 1
		.amdhsa_user_sgpr_dispatch_id 0
		.amdhsa_user_sgpr_flat_scratch_init 0
		.amdhsa_user_sgpr_private_segment_size 0
		.amdhsa_wavefront_size32 1
		.amdhsa_uses_dynamic_stack 0
		.amdhsa_system_sgpr_private_segment_wavefront_offset 0
		.amdhsa_system_sgpr_workgroup_id_x 1
		.amdhsa_system_sgpr_workgroup_id_y 0
		.amdhsa_system_sgpr_workgroup_id_z 0
		.amdhsa_system_sgpr_workgroup_info 0
		.amdhsa_system_vgpr_workitem_id 0
		.amdhsa_next_free_vgpr 109
		.amdhsa_next_free_sgpr 20
		.amdhsa_reserve_vcc 1
		.amdhsa_reserve_flat_scratch 0
		.amdhsa_float_round_mode_32 0
		.amdhsa_float_round_mode_16_64 0
		.amdhsa_float_denorm_mode_32 3
		.amdhsa_float_denorm_mode_16_64 3
		.amdhsa_dx10_clamp 1
		.amdhsa_ieee_mode 1
		.amdhsa_fp16_overflow 0
		.amdhsa_workgroup_processor_mode 1
		.amdhsa_memory_ordered 1
		.amdhsa_forward_progress 0
		.amdhsa_shared_vgpr_count 0
		.amdhsa_exception_fp_ieee_invalid_op 0
		.amdhsa_exception_fp_denorm_src 0
		.amdhsa_exception_fp_ieee_div_zero 0
		.amdhsa_exception_fp_ieee_overflow 0
		.amdhsa_exception_fp_ieee_underflow 0
		.amdhsa_exception_fp_ieee_inexact 0
		.amdhsa_exception_int_div_zero 0
	.end_amdhsa_kernel
	.text
.Lfunc_end0:
	.size	bluestein_single_fwd_len4096_dim1_half_op_CI_CI, .Lfunc_end0-bluestein_single_fwd_len4096_dim1_half_op_CI_CI
                                        ; -- End function
	.section	.AMDGPU.csdata,"",@progbits
; Kernel info:
; codeLenInByte = 13584
; NumSgprs: 22
; NumVgprs: 109
; ScratchSize: 0
; MemoryBound: 0
; FloatMode: 240
; IeeeMode: 1
; LDSByteSize: 16384 bytes/workgroup (compile time only)
; SGPRBlocks: 2
; VGPRBlocks: 13
; NumSGPRsForWavesPerEU: 22
; NumVGPRsForWavesPerEU: 109
; Occupancy: 9
; WaveLimiterHint : 1
; COMPUTE_PGM_RSRC2:SCRATCH_EN: 0
; COMPUTE_PGM_RSRC2:USER_SGPR: 6
; COMPUTE_PGM_RSRC2:TRAP_HANDLER: 0
; COMPUTE_PGM_RSRC2:TGID_X_EN: 1
; COMPUTE_PGM_RSRC2:TGID_Y_EN: 0
; COMPUTE_PGM_RSRC2:TGID_Z_EN: 0
; COMPUTE_PGM_RSRC2:TIDIG_COMP_CNT: 0
	.text
	.p2alignl 6, 3214868480
	.fill 48, 4, 3214868480
	.type	__hip_cuid_9b699e1fd260d6c6,@object ; @__hip_cuid_9b699e1fd260d6c6
	.section	.bss,"aw",@nobits
	.globl	__hip_cuid_9b699e1fd260d6c6
__hip_cuid_9b699e1fd260d6c6:
	.byte	0                               ; 0x0
	.size	__hip_cuid_9b699e1fd260d6c6, 1

	.ident	"AMD clang version 19.0.0git (https://github.com/RadeonOpenCompute/llvm-project roc-6.4.0 25133 c7fe45cf4b819c5991fe208aaa96edf142730f1d)"
	.section	".note.GNU-stack","",@progbits
	.addrsig
	.addrsig_sym __hip_cuid_9b699e1fd260d6c6
	.amdgpu_metadata
---
amdhsa.kernels:
  - .args:
      - .actual_access:  read_only
        .address_space:  global
        .offset:         0
        .size:           8
        .value_kind:     global_buffer
      - .actual_access:  read_only
        .address_space:  global
        .offset:         8
        .size:           8
        .value_kind:     global_buffer
      - .actual_access:  read_only
        .address_space:  global
        .offset:         16
        .size:           8
        .value_kind:     global_buffer
      - .actual_access:  read_only
        .address_space:  global
        .offset:         24
        .size:           8
        .value_kind:     global_buffer
      - .actual_access:  read_only
        .address_space:  global
        .offset:         32
        .size:           8
        .value_kind:     global_buffer
      - .offset:         40
        .size:           8
        .value_kind:     by_value
      - .address_space:  global
        .offset:         48
        .size:           8
        .value_kind:     global_buffer
      - .address_space:  global
        .offset:         56
        .size:           8
        .value_kind:     global_buffer
      - .address_space:  global
        .offset:         64
        .size:           8
        .value_kind:     global_buffer
      - .address_space:  global
        .offset:         72
        .size:           8
        .value_kind:     global_buffer
      - .offset:         80
        .size:           4
        .value_kind:     by_value
      - .address_space:  global
        .offset:         88
        .size:           8
        .value_kind:     global_buffer
      - .address_space:  global
        .offset:         96
        .size:           8
        .value_kind:     global_buffer
    .group_segment_fixed_size: 16384
    .kernarg_segment_align: 8
    .kernarg_segment_size: 104
    .language:       OpenCL C
    .language_version:
      - 2
      - 0
    .max_flat_workgroup_size: 256
    .name:           bluestein_single_fwd_len4096_dim1_half_op_CI_CI
    .private_segment_fixed_size: 0
    .sgpr_count:     22
    .sgpr_spill_count: 0
    .symbol:         bluestein_single_fwd_len4096_dim1_half_op_CI_CI.kd
    .uniform_work_group_size: 1
    .uses_dynamic_stack: false
    .vgpr_count:     109
    .vgpr_spill_count: 0
    .wavefront_size: 32
    .workgroup_processor_mode: 1
amdhsa.target:   amdgcn-amd-amdhsa--gfx1030
amdhsa.version:
  - 1
  - 2
...

	.end_amdgpu_metadata
